;; amdgpu-corpus repo=ROCm/rocFFT kind=compiled arch=gfx906 opt=O3
	.text
	.amdgcn_target "amdgcn-amd-amdhsa--gfx906"
	.amdhsa_code_object_version 6
	.protected	bluestein_single_fwd_len1134_dim1_sp_op_CI_CI ; -- Begin function bluestein_single_fwd_len1134_dim1_sp_op_CI_CI
	.globl	bluestein_single_fwd_len1134_dim1_sp_op_CI_CI
	.p2align	8
	.type	bluestein_single_fwd_len1134_dim1_sp_op_CI_CI,@function
bluestein_single_fwd_len1134_dim1_sp_op_CI_CI: ; @bluestein_single_fwd_len1134_dim1_sp_op_CI_CI
; %bb.0:
	s_load_dwordx4 s[8:11], s[4:5], 0x28
	v_mul_u32_u24_e32 v1, 0x209, v0
	v_add_u32_sdwa v98, s6, v1 dst_sel:DWORD dst_unused:UNUSED_PAD src0_sel:DWORD src1_sel:WORD_1
	v_mov_b32_e32 v99, 0
	s_waitcnt lgkmcnt(0)
	v_cmp_gt_u64_e32 vcc, s[8:9], v[98:99]
	s_and_saveexec_b64 s[0:1], vcc
	s_cbranch_execz .LBB0_23
; %bb.1:
	s_load_dwordx4 s[12:15], s[4:5], 0x18
	s_movk_i32 s6, 0x7e
	v_mul_lo_u16_sdwa v1, v1, s6 dst_sel:DWORD dst_unused:UNUSED_PAD src0_sel:WORD_1 src1_sel:DWORD
	v_sub_u16_e32 v114, v0, v1
	v_lshlrev_b32_e32 v113, 3, v114
	s_waitcnt lgkmcnt(0)
	s_load_dwordx4 s[0:3], s[12:13], 0x0
	s_waitcnt lgkmcnt(0)
	v_mad_u64_u32 v[0:1], s[6:7], s2, v98, 0
	v_mad_u64_u32 v[2:3], s[6:7], s0, v114, 0
	s_load_dwordx2 s[12:13], s[4:5], 0x0
	s_mul_i32 s6, s1, 0x237
	v_mad_u64_u32 v[4:5], s[2:3], s3, v98, v[1:2]
	s_mul_hi_u32 s7, s0, 0x237
	s_add_i32 s7, s7, s6
	v_mad_u64_u32 v[5:6], s[2:3], s1, v114, v[3:4]
	v_mov_b32_e32 v1, v4
	v_lshlrev_b64 v[0:1], 3, v[0:1]
	v_mov_b32_e32 v6, s11
	v_mov_b32_e32 v3, v5
	v_add_co_u32_e32 v4, vcc, s10, v0
	v_addc_co_u32_e32 v5, vcc, v6, v1, vcc
	v_lshlrev_b64 v[0:1], 3, v[2:3]
	s_waitcnt lgkmcnt(0)
	v_mov_b32_e32 v2, s13
	v_add_co_u32_e32 v0, vcc, v4, v0
	v_add_co_u32_e64 v90, s[2:3], s12, v113
	s_mul_i32 s6, s0, 0x237
	v_addc_co_u32_e32 v1, vcc, v5, v1, vcc
	v_addc_co_u32_e64 v91, vcc, 0, v2, s[2:3]
	s_lshl_b64 s[16:17], s[6:7], 3
	v_mov_b32_e32 v18, s17
	v_add_co_u32_e32 v2, vcc, s16, v0
	v_addc_co_u32_e32 v3, vcc, v1, v18, vcc
	s_movk_i32 s6, 0x1000
	v_add_co_u32_e32 v8, vcc, s6, v90
	s_mul_hi_u32 s6, s0, 0xfffffe47
	s_mulk_i32 s1, 0xfe47
	s_sub_i32 s6, s6, s0
	s_add_i32 s1, s6, s1
	s_mulk_i32 s0, 0xfe47
	v_addc_co_u32_e32 v9, vcc, 0, v91, vcc
	s_lshl_b64 s[18:19], s[0:1], 3
	global_load_dwordx2 v[107:108], v113, s[12:13]
	global_load_dwordx2 v[4:5], v[0:1], off
	global_load_dwordx2 v[6:7], v[2:3], off
	v_mov_b32_e32 v16, s19
	v_add_co_u32_e32 v0, vcc, s18, v2
	v_addc_co_u32_e32 v1, vcc, v3, v16, vcc
	global_load_dwordx2 v[105:106], v[8:9], off offset:440
	global_load_dwordx2 v[2:3], v[0:1], off
	global_load_dwordx2 v[103:104], v113, s[12:13] offset:1008
	v_add_co_u32_e32 v0, vcc, s16, v0
	v_addc_co_u32_e32 v1, vcc, v1, v18, vcc
	v_add_co_u32_e32 v10, vcc, s18, v0
	v_addc_co_u32_e32 v11, vcc, v1, v16, vcc
	global_load_dwordx2 v[101:102], v[8:9], off offset:1448
	global_load_dwordx2 v[12:13], v[0:1], off
	global_load_dwordx2 v[14:15], v[10:11], off
	global_load_dwordx2 v[99:100], v113, s[12:13] offset:2016
	v_add_co_u32_e32 v0, vcc, s16, v10
	v_addc_co_u32_e32 v1, vcc, v11, v18, vcc
	global_load_dwordx2 v[10:11], v[0:1], off
	global_load_dwordx2 v[96:97], v[8:9], off offset:2456
	v_add_co_u32_e32 v0, vcc, s18, v0
	v_addc_co_u32_e32 v1, vcc, v1, v16, vcc
	global_load_dwordx2 v[16:17], v[0:1], off
	global_load_dwordx2 v[94:95], v113, s[12:13] offset:3024
	v_add_co_u32_e32 v0, vcc, s16, v0
	v_addc_co_u32_e32 v1, vcc, v1, v18, vcc
	global_load_dwordx2 v[92:93], v[8:9], off offset:3464
	global_load_dwordx2 v[18:19], v[0:1], off
	s_load_dwordx2 s[6:7], s[4:5], 0x38
	s_load_dwordx4 s[8:11], s[14:15], 0x0
	v_cmp_gt_u16_e64 s[0:1], 63, v114
	s_waitcnt vmcnt(14)
	v_mul_f32_e32 v8, v5, v108
	v_mul_f32_e32 v9, v4, v108
	v_fmac_f32_e32 v8, v4, v107
	v_fma_f32 v9, v5, v107, -v9
	s_waitcnt vmcnt(12)
	v_mul_f32_e32 v4, v7, v106
	v_mul_f32_e32 v5, v6, v106
	v_fmac_f32_e32 v4, v6, v105
	v_fma_f32 v5, v7, v105, -v5
	ds_write_b64 v113, v[4:5] offset:4536
	s_waitcnt vmcnt(10)
	v_mul_f32_e32 v4, v3, v104
	v_fmac_f32_e32 v4, v2, v103
	v_mul_f32_e32 v2, v2, v104
	v_fma_f32 v5, v3, v103, -v2
	ds_write2_b64 v113, v[8:9], v[4:5] offset1:126
	s_waitcnt vmcnt(8)
	v_mul_f32_e32 v2, v13, v102
	v_mul_f32_e32 v3, v12, v102
	v_fmac_f32_e32 v2, v12, v101
	v_fma_f32 v3, v13, v101, -v3
	v_add_u32_e32 v8, 0x1400, v113
	s_waitcnt vmcnt(6)
	v_mul_f32_e32 v4, v15, v100
	s_waitcnt vmcnt(4)
	v_mul_f32_e32 v6, v11, v97
	v_mul_f32_e32 v7, v10, v97
	v_fmac_f32_e32 v6, v10, v96
	v_fma_f32 v7, v11, v96, -v7
	v_mul_f32_e32 v5, v14, v100
	ds_write2_b64 v8, v[2:3], v[6:7] offset0:53 offset1:179
	s_waitcnt vmcnt(2)
	v_mul_f32_e32 v6, v17, v95
	v_mul_f32_e32 v2, v16, v95
	v_fmac_f32_e32 v4, v14, v99
	v_fma_f32 v5, v15, v99, -v5
	v_fmac_f32_e32 v6, v16, v94
	v_fma_f32 v7, v17, v94, -v2
	v_add_u32_e32 v2, 0x400, v113
	ds_write2_b64 v2, v[4:5], v[6:7] offset0:124 offset1:250
	s_waitcnt vmcnt(0)
	v_mul_f32_e32 v3, v19, v93
	v_mul_f32_e32 v4, v18, v93
	v_fmac_f32_e32 v3, v18, v92
	v_fma_f32 v4, v19, v92, -v4
	ds_write_b64 v113, v[3:4] offset:7560
	s_and_saveexec_b64 s[14:15], s[0:1]
	s_cbranch_execz .LBB0_3
; %bb.2:
	v_mov_b32_e32 v3, s19
	v_add_co_u32_e32 v0, vcc, s18, v0
	v_addc_co_u32_e32 v1, vcc, v1, v3, vcc
	global_load_dwordx2 v[3:4], v[0:1], off
	global_load_dwordx2 v[5:6], v[90:91], off offset:4032
	v_mov_b32_e32 v7, s17
	v_add_co_u32_e32 v0, vcc, s16, v0
	v_addc_co_u32_e32 v1, vcc, v1, v7, vcc
	v_add_co_u32_e32 v7, vcc, 0x2000, v90
	v_addc_co_u32_e32 v8, vcc, 0, v91, vcc
	global_load_dwordx2 v[9:10], v[7:8], off offset:376
	global_load_dwordx2 v[11:12], v[0:1], off
	s_waitcnt vmcnt(2)
	v_mul_f32_e32 v0, v4, v6
	v_mul_f32_e32 v1, v3, v6
	v_fmac_f32_e32 v0, v3, v5
	v_fma_f32 v1, v4, v5, -v1
	ds_write_b64 v113, v[0:1] offset:4032
	s_waitcnt vmcnt(0)
	v_mul_f32_e32 v3, v12, v10
	v_mul_f32_e32 v4, v11, v10
	v_fmac_f32_e32 v3, v11, v9
	v_fma_f32 v4, v12, v9, -v4
	ds_write_b64 v113, v[3:4] offset:8568
.LBB0_3:
	s_or_b64 exec, exec, s[14:15]
	v_add_u32_e32 v0, 0x1000, v113
	v_add_u32_e32 v8, 0x1800, v113
	s_load_dwordx2 s[14:15], s[4:5], 0x8
	s_waitcnt lgkmcnt(0)
	s_barrier
	ds_read2_b64 v[4:7], v113 offset1:126
	ds_read2_b64 v[12:15], v0 offset0:55 offset1:181
	ds_read2_b64 v[0:3], v2 offset0:124 offset1:250
	;; [unrolled: 1-line block ×3, first 2 shown]
                                        ; implicit-def: $vgpr18
                                        ; implicit-def: $vgpr16
	s_and_saveexec_b64 s[4:5], s[0:1]
	s_cbranch_execz .LBB0_5
; %bb.4:
	ds_read_b64 v[16:17], v113 offset:4032
	ds_read_b64 v[18:19], v113 offset:8568
.LBB0_5:
	s_or_b64 exec, exec, s[4:5]
	s_waitcnt lgkmcnt(2)
	v_sub_f32_e32 v14, v6, v14
	v_sub_f32_e32 v22, v4, v12
	;; [unrolled: 1-line block ×3, first 2 shown]
	v_fma_f32 v12, v6, 2.0, -v14
	s_waitcnt lgkmcnt(0)
	v_sub_f32_e32 v6, v0, v8
	v_add_co_u32_e32 v28, vcc, 0x7e, v114
	v_add_co_u32_e32 v30, vcc, 0xfc, v114
	v_add_co_u32_e32 v24, vcc, 0x1f8, v114
	v_sub_f32_e32 v23, v5, v13
	v_fma_f32 v20, v4, 2.0, -v22
	v_fma_f32 v13, v7, 2.0, -v15
	v_sub_f32_e32 v7, v1, v9
	v_fma_f32 v4, v0, 2.0, -v6
	v_lshlrev_b16_e32 v0, 1, v114
	v_lshlrev_b32_e32 v119, 4, v114
	v_fma_f32 v21, v5, 2.0, -v23
	v_fma_f32 v5, v1, 2.0, -v7
	v_sub_f32_e32 v10, v2, v10
	v_sub_f32_e32 v11, v3, v11
	;; [unrolled: 1-line block ×4, first 2 shown]
	v_lshlrev_b32_e32 v116, 3, v0
	v_lshlrev_b32_e32 v117, 4, v28
	;; [unrolled: 1-line block ×4, first 2 shown]
	v_fma_f32 v8, v2, 2.0, -v10
	v_fma_f32 v9, v3, 2.0, -v11
	s_barrier
	ds_write_b128 v116, v[20:23]
	ds_write_b128 v117, v[12:15]
	;; [unrolled: 1-line block ×3, first 2 shown]
	ds_write_b128 v119, v[8:11] offset:6048
	s_and_saveexec_b64 s[4:5], s[0:1]
	s_cbranch_execz .LBB0_7
; %bb.6:
	v_fma_f32 v63, v17, 2.0, -v65
	v_fma_f32 v62, v16, 2.0, -v64
	ds_write_b128 v115, v[62:65]
.LBB0_7:
	s_or_b64 exec, exec, s[4:5]
	v_and_b32_e32 v22, 1, v114
	v_lshlrev_b32_e32 v0, 4, v22
	s_waitcnt lgkmcnt(0)
	s_barrier
	global_load_dwordx4 v[0:3], v0, s[14:15]
	ds_read2_b64 v[4:7], v113 offset1:126
	v_add_u32_e32 v31, 0x400, v113
	v_add_u32_e32 v131, 0x1400, v113
	;; [unrolled: 1-line block ×3, first 2 shown]
	ds_read_b64 v[20:21], v113 offset:8064
	ds_read2_b64 v[8:11], v31 offset0:124 offset1:250
	ds_read2_b64 v[12:15], v131 offset0:116 offset1:242
	;; [unrolled: 1-line block ×3, first 2 shown]
	s_waitcnt vmcnt(0) lgkmcnt(0)
	s_barrier
	s_movk_i32 s4, 0xab
	v_mov_b32_e32 v48, s15
	v_add_u32_e32 v133, 0x800, v113
                                        ; implicit-def: $vgpr111
                                        ; implicit-def: $vgpr84
                                        ; implicit-def: $vgpr88
	v_mul_f32_e32 v23, v11, v1
	v_mul_f32_e32 v24, v10, v1
	v_mul_f32_e32 v25, v13, v3
	v_mul_f32_e32 v32, v16, v1
	v_fma_f32 v10, v10, v0, -v23
	v_fmac_f32_e32 v24, v11, v0
	v_fma_f32 v11, v12, v2, -v25
	v_mul_f32_e32 v26, v12, v3
	v_mul_f32_e32 v27, v17, v1
	v_fmac_f32_e32 v32, v17, v0
	v_add_f32_e32 v17, v10, v11
	v_mul_f32_e32 v33, v15, v3
	v_mul_f32_e32 v35, v19, v1
	;; [unrolled: 1-line block ×3, first 2 shown]
	v_fmac_f32_e32 v26, v13, v2
	v_fma_f32 v12, v16, v0, -v27
	v_add_f32_e32 v16, v4, v10
	v_fma_f32 v4, -0.5, v17, v4
	v_mul_f32_e32 v34, v14, v3
	v_fma_f32 v13, v14, v2, -v33
	v_fma_f32 v14, v18, v0, -v35
	v_fmac_f32_e32 v36, v19, v0
	v_sub_f32_e32 v23, v24, v26
	v_add_f32_e32 v18, v5, v24
	v_add_f32_e32 v19, v24, v26
	v_sub_f32_e32 v24, v10, v11
	v_add_f32_e32 v10, v16, v11
	v_mov_b32_e32 v16, v4
	v_fmac_f32_e32 v4, 0xbf5db3d7, v23
	v_fmac_f32_e32 v16, 0x3f5db3d7, v23
	v_lshrrev_b32_e32 v23, 1, v114
	v_fma_f32 v5, -0.5, v19, v5
	v_mul_u32_u24_e32 v23, 6, v23
	v_mov_b32_e32 v17, v5
	v_or_b32_e32 v23, v23, v22
	v_add_f32_e32 v11, v18, v26
	v_fmac_f32_e32 v17, 0xbf5db3d7, v24
	v_lshlrev_b32_e32 v120, 3, v23
	v_fmac_f32_e32 v5, 0x3f5db3d7, v24
	ds_write2_b64 v120, v[10:11], v[16:17] offset1:2
	ds_write_b64 v120, v[4:5] offset:32
	v_lshrrev_b32_e32 v4, 1, v28
	v_mul_u32_u24_e32 v4, 6, v4
	v_or_b32_e32 v4, v4, v22
	v_lshlrev_b32_e32 v121, 3, v4
	v_lshrrev_b32_e32 v4, 1, v30
	v_mul_u32_u24_e32 v4, 6, v4
	v_mul_f32_e32 v37, v21, v3
	v_mul_f32_e32 v38, v20, v3
	v_or_b32_e32 v4, v4, v22
	v_fmac_f32_e32 v34, v15, v2
	v_fma_f32 v15, v20, v2, -v37
	v_fmac_f32_e32 v38, v21, v2
	v_add_f32_e32 v35, v8, v14
	v_add_f32_e32 v40, v9, v36
	v_lshlrev_b32_e32 v122, 3, v4
	v_mul_lo_u16_sdwa v4, v114, s4 dst_sel:DWORD dst_unused:UNUSED_PAD src0_sel:BYTE_0 src1_sel:DWORD
	v_add_f32_e32 v37, v14, v15
	v_sub_f32_e32 v39, v36, v38
	v_add_f32_e32 v36, v36, v38
	v_sub_f32_e32 v41, v14, v15
	v_add_f32_e32 v14, v35, v15
	v_add_f32_e32 v15, v40, v38
	v_lshrrev_b16_e32 v38, 10, v4
	v_add_f32_e32 v20, v6, v12
	v_fma_f32 v8, -0.5, v37, v8
	v_mul_lo_u16_e32 v4, 6, v38
	v_add_f32_e32 v21, v12, v13
	v_sub_f32_e32 v33, v12, v13
	v_add_f32_e32 v12, v20, v13
	v_mov_b32_e32 v20, v8
	v_sub_u16_e32 v4, v114, v4
	v_sub_f32_e32 v25, v32, v34
	v_add_f32_e32 v27, v7, v32
	v_add_f32_e32 v32, v32, v34
	v_fmac_f32_e32 v8, 0xbf5db3d7, v39
	v_fmac_f32_e32 v20, 0x3f5db3d7, v39
	v_and_b32_e32 v39, 0xff, v4
	v_mul_lo_u16_sdwa v4, v28, s4 dst_sel:DWORD dst_unused:UNUSED_PAD src0_sel:BYTE_0 src1_sel:DWORD
	v_fma_f32 v6, -0.5, v21, v6
	v_fmac_f32_e32 v7, -0.5, v32
	v_lshrrev_b16_e32 v40, 10, v4
	v_fmac_f32_e32 v9, -0.5, v36
	v_mov_b32_e32 v18, v6
	v_mov_b32_e32 v19, v7
	v_mul_lo_u16_e32 v4, 6, v40
	v_add_f32_e32 v13, v27, v34
	v_mov_b32_e32 v21, v9
	v_fmac_f32_e32 v18, 0x3f5db3d7, v25
	v_fmac_f32_e32 v19, 0xbf5db3d7, v33
	v_sub_u16_e32 v4, v28, v4
	v_fmac_f32_e32 v6, 0xbf5db3d7, v25
	v_fmac_f32_e32 v7, 0x3f5db3d7, v33
	;; [unrolled: 1-line block ×4, first 2 shown]
	ds_write2_b64 v121, v[12:13], v[18:19] offset1:2
	ds_write_b64 v121, v[6:7] offset:32
	v_lshlrev_b32_e32 v12, 4, v39
	v_and_b32_e32 v41, 0xff, v4
	ds_write2_b64 v122, v[14:15], v[20:21] offset1:2
	ds_write_b64 v122, v[8:9] offset:32
	s_waitcnt lgkmcnt(0)
	s_barrier
	v_lshlrev_b32_e32 v13, 4, v41
	global_load_dwordx4 v[8:11], v12, s[14:15] offset:32
	global_load_dwordx4 v[4:7], v13, s[14:15] offset:32
	s_mov_b32 s4, 0xaaab
	v_mul_u32_u24_sdwa v12, v30, s4 dst_sel:DWORD dst_unused:UNUSED_PAD src0_sel:WORD_0 src1_sel:DWORD
	v_lshrrev_b32_e32 v42, 18, v12
	v_mul_lo_u16_e32 v12, 6, v42
	v_sub_u16_e32 v43, v30, v12
	v_lshlrev_b16_e32 v12, 4, v43
	v_add_co_u32_e32 v12, vcc, s14, v12
	v_addc_co_u32_e32 v13, vcc, 0, v48, vcc
	global_load_dwordx4 v[12:15], v[12:13], off offset:32
	ds_read2_b64 v[16:19], v31 offset0:124 offset1:250
	ds_read2_b64 v[20:23], v113 offset1:126
	ds_read2_b64 v[24:27], v131 offset0:116 offset1:242
	ds_read2_b64 v[32:35], v29 offset0:120 offset1:246
	ds_read_b64 v[36:37], v113 offset:8064
	v_mul_u32_u24_e32 v38, 18, v38
	v_add_lshl_u32 v123, v38, v39, 3
	s_waitcnt vmcnt(0) lgkmcnt(0)
	s_barrier
	s_mov_b32 s4, 0xe38f
	v_mul_f32_e32 v44, v19, v9
	v_mul_f32_e32 v46, v25, v11
	;; [unrolled: 1-line block ×4, first 2 shown]
	v_fma_f32 v46, v24, v10, -v46
	v_fmac_f32_e32 v47, v25, v10
	v_fma_f32 v25, v18, v8, -v44
	v_fmac_f32_e32 v45, v19, v8
	v_add_f32_e32 v19, v25, v46
	v_mul_f32_e32 v51, v27, v7
	v_add_f32_e32 v18, v20, v25
	v_fma_f32 v20, -0.5, v19, v20
	v_mul_f32_e32 v52, v26, v7
	v_fma_f32 v51, v26, v6, -v51
	v_sub_f32_e32 v26, v45, v47
	v_mov_b32_e32 v24, v20
	v_mul_f32_e32 v49, v33, v5
	v_fmac_f32_e32 v20, 0xbf5db3d7, v26
	v_fmac_f32_e32 v24, 0x3f5db3d7, v26
	v_add_f32_e32 v26, v45, v47
	v_fma_f32 v44, v32, v4, -v49
	v_add_f32_e32 v19, v21, v45
	v_fma_f32 v21, -0.5, v26, v21
	v_mul_f32_e32 v50, v32, v5
	v_fmac_f32_e32 v52, v27, v6
	v_sub_f32_e32 v26, v25, v46
	v_mov_b32_e32 v25, v21
	v_add_f32_e32 v27, v44, v51
	v_fmac_f32_e32 v50, v33, v4
	v_fmac_f32_e32 v25, 0xbf5db3d7, v26
	;; [unrolled: 1-line block ×3, first 2 shown]
	v_add_f32_e32 v26, v22, v44
	v_fma_f32 v22, -0.5, v27, v22
	v_mul_f32_e32 v53, v35, v13
	v_mul_f32_e32 v55, v37, v15
	v_sub_f32_e32 v27, v50, v52
	v_mov_b32_e32 v32, v22
	v_add_f32_e32 v33, v50, v52
	v_mul_f32_e32 v54, v34, v13
	v_fma_f32 v49, v34, v12, -v53
	v_fma_f32 v53, v36, v14, -v55
	v_fmac_f32_e32 v32, 0x3f5db3d7, v27
	v_fmac_f32_e32 v22, 0xbf5db3d7, v27
	v_add_f32_e32 v27, v23, v50
	v_fmac_f32_e32 v23, -0.5, v33
	v_mul_f32_e32 v56, v36, v15
	v_fmac_f32_e32 v54, v35, v12
	v_sub_f32_e32 v34, v44, v51
	v_mov_b32_e32 v33, v23
	v_add_f32_e32 v35, v49, v53
	v_fmac_f32_e32 v56, v37, v14
	v_fmac_f32_e32 v33, 0xbf5db3d7, v34
	;; [unrolled: 1-line block ×3, first 2 shown]
	v_add_f32_e32 v34, v16, v49
	v_fma_f32 v16, -0.5, v35, v16
	v_add_f32_e32 v18, v18, v46
	v_add_f32_e32 v19, v19, v47
	v_sub_f32_e32 v35, v54, v56
	v_mov_b32_e32 v36, v16
	v_add_f32_e32 v37, v54, v56
	v_fmac_f32_e32 v36, 0x3f5db3d7, v35
	v_fmac_f32_e32 v16, 0xbf5db3d7, v35
	v_add_f32_e32 v35, v17, v54
	v_fmac_f32_e32 v17, -0.5, v37
	ds_write2_b64 v123, v[18:19], v[24:25] offset1:6
	ds_write_b64 v123, v[20:21] offset:96
	v_mul_u32_u24_e32 v18, 18, v40
	v_sub_f32_e32 v44, v49, v53
	v_mov_b32_e32 v37, v17
	v_add_lshl_u32 v124, v18, v41, 3
	v_mad_legacy_u16 v18, v42, 18, v43
	v_add_f32_e32 v26, v26, v51
	v_add_f32_e32 v27, v27, v52
	;; [unrolled: 1-line block ×4, first 2 shown]
	v_fmac_f32_e32 v37, 0xbf5db3d7, v44
	v_lshlrev_b32_e32 v125, 3, v18
	v_fmac_f32_e32 v17, 0x3f5db3d7, v44
	ds_write2_b64 v124, v[26:27], v[32:33] offset1:6
	ds_write_b64 v124, v[22:23] offset:96
	ds_write2_b64 v125, v[34:35], v[36:37] offset1:6
	ds_write_b64 v125, v[16:17] offset:96
	v_mov_b32_e32 v16, 57
	v_mul_lo_u16_sdwa v17, v114, v16 dst_sel:DWORD dst_unused:UNUSED_PAD src0_sel:BYTE_0 src1_sel:DWORD
	v_lshrrev_b16_e32 v40, 10, v17
	v_mul_lo_u16_sdwa v16, v28, v16 dst_sel:DWORD dst_unused:UNUSED_PAD src0_sel:BYTE_0 src1_sel:DWORD
	v_mul_lo_u16_e32 v17, 18, v40
	v_lshrrev_b16_e32 v44, 10, v16
	v_sub_u16_e32 v17, v114, v17
	v_mul_lo_u16_e32 v16, 18, v44
	v_and_b32_e32 v41, 0xff, v17
	v_sub_u16_e32 v16, v28, v16
	v_lshlrev_b32_e32 v24, 4, v41
	v_and_b32_e32 v45, 0xff, v16
	s_waitcnt lgkmcnt(0)
	s_barrier
	v_lshlrev_b32_e32 v25, 4, v45
	global_load_dwordx4 v[20:23], v24, s[14:15] offset:128
	global_load_dwordx4 v[16:19], v25, s[14:15] offset:128
	v_mul_u32_u24_sdwa v24, v30, s4 dst_sel:DWORD dst_unused:UNUSED_PAD src0_sel:WORD_0 src1_sel:DWORD
	v_lshrrev_b32_e32 v46, 20, v24
	v_mul_lo_u16_e32 v24, 18, v46
	v_sub_u16_e32 v47, v30, v24
	v_lshlrev_b16_e32 v24, 4, v47
	v_add_co_u32_e32 v24, vcc, s14, v24
	v_addc_co_u32_e32 v25, vcc, 0, v48, vcc
	global_load_dwordx4 v[24:27], v[24:25], off offset:128
	ds_read2_b64 v[32:35], v131 offset0:116 offset1:242
	ds_read2_b64 v[36:39], v29 offset0:120 offset1:246
	v_mul_u32_u24_e32 v40, 54, v40
	v_add_lshl_u32 v126, v40, v41, 3
	s_movk_i32 s4, 0xa2
	s_waitcnt vmcnt(2) lgkmcnt(1)
	v_mul_f32_e32 v42, v33, v23
	v_fma_f32 v42, v32, v22, -v42
	v_mul_f32_e32 v43, v32, v23
	s_waitcnt vmcnt(1)
	v_mul_f32_e32 v32, v35, v19
	v_fma_f32 v49, v34, v18, -v32
	v_mul_f32_e32 v50, v34, v19
	s_waitcnt lgkmcnt(0)
	v_mul_f32_e32 v32, v37, v17
	v_fmac_f32_e32 v43, v33, v22
	v_fmac_f32_e32 v50, v35, v18
	v_fma_f32 v51, v36, v16, -v32
	ds_read2_b64 v[32:35], v31 offset0:124 offset1:250
	v_mul_f32_e32 v52, v36, v17
	s_waitcnt vmcnt(0)
	v_mul_f32_e32 v36, v39, v25
	v_mul_f32_e32 v54, v38, v25
	v_fmac_f32_e32 v52, v37, v16
	v_fma_f32 v53, v38, v24, -v36
	v_fmac_f32_e32 v54, v39, v24
	ds_read2_b64 v[36:39], v113 offset1:126
	s_waitcnt lgkmcnt(1)
	v_mul_f32_e32 v56, v34, v21
	v_mul_f32_e32 v55, v35, v21
	v_fmac_f32_e32 v56, v35, v20
	v_fma_f32 v55, v34, v20, -v55
	s_waitcnt lgkmcnt(0)
	v_add_f32_e32 v35, v37, v56
	v_add_f32_e32 v35, v35, v43
	v_sub_f32_e32 v57, v56, v43
	v_add_f32_e32 v43, v56, v43
	v_add_f32_e32 v56, v55, v42
	;; [unrolled: 1-line block ×3, first 2 shown]
	v_fma_f32 v36, -0.5, v56, v36
	v_fma_f32 v37, -0.5, v43, v37
	v_sub_f32_e32 v55, v55, v42
	v_mov_b32_e32 v40, v36
	v_mov_b32_e32 v41, v37
	v_add_f32_e32 v34, v34, v42
	v_fmac_f32_e32 v40, 0x3f5db3d7, v57
	v_fmac_f32_e32 v41, 0xbf5db3d7, v55
	ds_read_b64 v[42:43], v113 offset:8064
	v_fmac_f32_e32 v36, 0xbf5db3d7, v57
	v_fmac_f32_e32 v37, 0x3f5db3d7, v55
	s_waitcnt lgkmcnt(0)
	s_barrier
	ds_write2_b64 v126, v[34:35], v[40:41] offset1:18
	ds_write_b64 v126, v[36:37] offset:288
	v_add_f32_e32 v35, v51, v49
	v_add_f32_e32 v36, v52, v50
	;; [unrolled: 1-line block ×3, first 2 shown]
	v_fma_f32 v38, -0.5, v35, v38
	v_add_f32_e32 v35, v39, v52
	v_fmac_f32_e32 v39, -0.5, v36
	v_mul_u32_u24_e32 v36, 54, v44
	v_sub_f32_e32 v40, v52, v50
	v_sub_f32_e32 v41, v51, v49
	v_add_lshl_u32 v127, v36, v45, 3
	v_mov_b32_e32 v36, v38
	v_mov_b32_e32 v37, v39
	v_add_f32_e32 v34, v34, v49
	v_add_f32_e32 v35, v35, v50
	v_fmac_f32_e32 v36, 0x3f5db3d7, v40
	v_fmac_f32_e32 v37, 0xbf5db3d7, v41
	ds_write2_b64 v127, v[34:35], v[36:37] offset1:18
	v_mul_f32_e32 v34, v43, v27
	v_fma_f32 v35, v42, v26, -v34
	v_mul_f32_e32 v42, v42, v27
	v_add_f32_e32 v34, v53, v35
	v_fmac_f32_e32 v42, v43, v26
	v_add_f32_e32 v36, v32, v53
	v_fma_f32 v32, -0.5, v34, v32
	v_fmac_f32_e32 v38, 0xbf5db3d7, v40
	v_sub_f32_e32 v37, v54, v42
	v_mov_b32_e32 v34, v32
	v_add_f32_e32 v40, v54, v42
	v_fmac_f32_e32 v39, 0x3f5db3d7, v41
	v_fmac_f32_e32 v34, 0x3f5db3d7, v37
	;; [unrolled: 1-line block ×3, first 2 shown]
	v_add_f32_e32 v37, v33, v54
	v_fmac_f32_e32 v33, -0.5, v40
	v_add_f32_e32 v36, v36, v35
	v_sub_f32_e32 v40, v53, v35
	v_mov_b32_e32 v35, v33
	ds_write_b64 v127, v[38:39] offset:288
	v_mad_legacy_u16 v38, v46, 54, v47
	v_add_f32_e32 v37, v37, v42
	v_fmac_f32_e32 v35, 0xbf5db3d7, v40
	v_lshlrev_b32_e32 v128, 3, v38
	v_fmac_f32_e32 v33, 0x3f5db3d7, v40
	ds_write2_b64 v128, v[36:37], v[34:35] offset1:18
	ds_write_b64 v128, v[32:33] offset:288
	v_mov_b32_e32 v32, 19
	v_mul_lo_u16_sdwa v33, v114, v32 dst_sel:DWORD dst_unused:UNUSED_PAD src0_sel:BYTE_0 src1_sel:DWORD
	v_mul_lo_u16_sdwa v32, v28, v32 dst_sel:DWORD dst_unused:UNUSED_PAD src0_sel:BYTE_0 src1_sel:DWORD
	v_lshrrev_b16_e32 v52, 10, v33
	v_lshrrev_b16_e32 v54, 10, v32
	v_mul_lo_u16_e32 v33, 54, v52
	v_mul_lo_u16_e32 v32, 54, v54
	v_sub_u16_e32 v33, v114, v33
	v_sub_u16_e32 v32, v28, v32
	v_and_b32_e32 v53, 0xff, v33
	v_and_b32_e32 v55, 0xff, v32
	v_lshlrev_b32_e32 v33, 4, v53
	v_lshlrev_b32_e32 v32, 4, v55
	s_waitcnt lgkmcnt(0)
	s_barrier
	global_load_dwordx4 v[44:47], v33, s[14:15] offset:416
	global_load_dwordx4 v[40:43], v32, s[14:15] offset:416
	v_lshrrev_b16_e32 v32, 1, v30
	v_mul_u32_u24_e32 v32, 0x97b5, v32
	v_lshrrev_b32_e32 v56, 20, v32
	v_mul_lo_u16_e32 v32, 54, v56
	v_sub_u16_e32 v57, v30, v32
	v_lshlrev_b16_e32 v30, 4, v57
	v_add_co_u32_e32 v32, vcc, s14, v30
	v_addc_co_u32_e32 v33, vcc, 0, v48, vcc
	global_load_dwordx4 v[48:51], v[32:33], off offset:416
	ds_read2_b64 v[32:35], v131 offset0:116 offset1:242
	ds_read2_b64 v[36:39], v29 offset0:120 offset1:246
	;; [unrolled: 1-line block ×3, first 2 shown]
	s_waitcnt vmcnt(2) lgkmcnt(2)
	v_mul_f32_e32 v30, v33, v47
	v_fma_f32 v58, v32, v46, -v30
	s_waitcnt vmcnt(1)
	v_mul_f32_e32 v30, v35, v43
	v_fma_f32 v60, v34, v42, -v30
	s_waitcnt lgkmcnt(1)
	v_mul_f32_e32 v30, v37, v41
	v_mul_f32_e32 v59, v32, v47
	v_fma_f32 v62, v36, v40, -v30
	v_fmac_f32_e32 v59, v33, v46
	v_mul_f32_e32 v63, v36, v41
	v_mul_f32_e32 v61, v34, v43
	v_fmac_f32_e32 v63, v37, v40
	s_waitcnt lgkmcnt(0)
	v_mul_f32_e32 v34, v71, v45
	s_waitcnt vmcnt(0)
	v_mul_f32_e32 v30, v39, v49
	v_fma_f32 v66, v38, v48, -v30
	ds_read2_b64 v[30:33], v113 offset1:126
	v_mul_f32_e32 v37, v70, v45
	v_fma_f32 v36, v70, v44, -v34
	v_fmac_f32_e32 v37, v71, v44
	v_fmac_f32_e32 v61, v35, v42
	v_mul_f32_e32 v67, v38, v49
	s_waitcnt lgkmcnt(0)
	v_add_f32_e32 v34, v30, v36
	v_add_f32_e32 v35, v31, v37
	v_sub_f32_e32 v70, v37, v59
	v_add_f32_e32 v37, v37, v59
	v_add_f32_e32 v38, v36, v58
	;; [unrolled: 1-line block ×3, first 2 shown]
	v_fma_f32 v30, -0.5, v38, v30
	v_fma_f32 v31, -0.5, v37, v31
	v_sub_f32_e32 v58, v36, v58
	v_mul_u32_u24_e32 v36, 0xa2, v52
	v_add_lshl_u32 v129, v36, v53, 3
	v_mov_b32_e32 v36, v30
	v_mov_b32_e32 v37, v31
	v_fmac_f32_e32 v67, v39, v48
	v_add_f32_e32 v35, v35, v59
	v_fmac_f32_e32 v36, 0x3f5db3d7, v70
	v_fmac_f32_e32 v37, 0xbf5db3d7, v58
	ds_read_b64 v[38:39], v113 offset:8064
	v_fmac_f32_e32 v30, 0xbf5db3d7, v70
	v_fmac_f32_e32 v31, 0x3f5db3d7, v58
	s_waitcnt lgkmcnt(0)
	s_barrier
	ds_write2_b64 v129, v[34:35], v[36:37] offset1:54
	ds_write_b64 v129, v[30:31] offset:864
	v_add_f32_e32 v31, v62, v60
	v_add_f32_e32 v34, v63, v61
	;; [unrolled: 1-line block ×3, first 2 shown]
	v_fma_f32 v32, -0.5, v31, v32
	v_add_f32_e32 v31, v33, v63
	v_fmac_f32_e32 v33, -0.5, v34
	v_mul_u32_u24_e32 v34, 0xa2, v54
	v_sub_f32_e32 v36, v63, v61
	v_sub_f32_e32 v37, v62, v60
	v_add_lshl_u32 v130, v34, v55, 3
	v_mov_b32_e32 v34, v32
	v_mov_b32_e32 v35, v33
	v_add_f32_e32 v30, v30, v60
	v_add_f32_e32 v31, v31, v61
	v_fmac_f32_e32 v34, 0x3f5db3d7, v36
	v_fmac_f32_e32 v35, 0xbf5db3d7, v37
	ds_write2_b64 v130, v[30:31], v[34:35] offset1:54
	v_fmac_f32_e32 v32, 0xbf5db3d7, v36
	v_fmac_f32_e32 v33, 0x3f5db3d7, v37
	v_mul_f32_e32 v30, v39, v51
	ds_write_b64 v130, v[32:33] offset:864
	v_fma_f32 v32, v38, v50, -v30
	v_mul_f32_e32 v33, v38, v51
	v_add_f32_e32 v31, v66, v32
	v_fmac_f32_e32 v33, v39, v50
	v_add_f32_e32 v30, v68, v66
	v_fma_f32 v68, -0.5, v31, v68
	v_add_f32_e32 v31, v69, v67
	v_add_f32_e32 v31, v31, v33
	v_sub_f32_e32 v34, v67, v33
	v_add_f32_e32 v33, v67, v33
	v_fmac_f32_e32 v69, -0.5, v33
	v_add_f32_e32 v30, v30, v32
	v_sub_f32_e32 v32, v66, v32
	v_mad_legacy_u16 v33, v56, s4, v57
	v_mov_b32_e32 v66, v68
	v_mov_b32_e32 v67, v69
	v_fmac_f32_e32 v66, 0x3f5db3d7, v34
	v_fmac_f32_e32 v67, 0xbf5db3d7, v32
	v_lshlrev_b32_e32 v132, 3, v33
	v_fmac_f32_e32 v68, 0xbf5db3d7, v34
	v_fmac_f32_e32 v69, 0x3f5db3d7, v32
	ds_write2_b64 v132, v[30:31], v[66:67] offset1:54
	ds_write_b64 v132, v[68:69] offset:864
	s_waitcnt lgkmcnt(0)
	s_barrier
	ds_read_b64 v[109:110], v113 offset:7776
	ds_read2_b64 v[70:73], v113 offset1:162
	ds_read2_b64 v[78:81], v133 offset0:68 offset1:230
	ds_read2_b64 v[74:77], v131 offset0:8 offset1:170
	v_cmp_gt_u16_e64 s[4:5], 36, v114
	s_and_saveexec_b64 s[16:17], s[4:5]
	s_cbranch_execz .LBB0_9
; %bb.8:
	v_add_u32_e32 v30, 0x200, v113
	ds_read2_b64 v[82:85], v29 offset0:66 offset1:228
	ds_read2_b64 v[66:69], v30 offset0:62 offset1:224
	v_add_u32_e32 v29, 0x1800, v113
	ds_read2_b64 v[86:89], v29 offset0:6 offset1:168
	ds_read_b64 v[111:112], v113 offset:8784
	s_waitcnt lgkmcnt(3)
	v_mov_b32_e32 v64, v82
	v_mov_b32_e32 v65, v83
.LBB0_9:
	s_or_b64 exec, exec, s[16:17]
	v_mad_u64_u32 v[29:30], s[16:17], v114, 48, s[14:15]
	v_subrev_u32_e32 v31, 36, v114
	v_cndmask_b32_e64 v28, v31, v28, s[4:5]
	global_load_dwordx4 v[52:55], v[29:30], off offset:1280
	global_load_dwordx4 v[60:63], v[29:30], off offset:1296
	v_mul_hi_i32_i24_e32 v31, 48, v28
	v_mul_i32_i24_e32 v28, 48, v28
	global_load_dwordx4 v[56:59], v[29:30], off offset:1312
	v_mov_b32_e32 v33, s15
	v_add_co_u32_e32 v32, vcc, s14, v28
	v_addc_co_u32_e32 v33, vcc, v33, v31, vcc
	global_load_dwordx4 v[28:31], v[32:33], off offset:1280
	global_load_dwordx4 v[36:39], v[32:33], off offset:1296
	s_nop 0
	global_load_dwordx4 v[32:35], v[32:33], off offset:1312
	s_mov_b32 s12, 0x3f5ff5aa
	s_mov_b32 s14, 0x3f3bfb3b
	;; [unrolled: 1-line block ×4, first 2 shown]
	s_waitcnt vmcnt(5) lgkmcnt(2)
	v_mul_f32_e32 v82, v73, v53
	v_mul_f32_e32 v83, v72, v53
	s_waitcnt lgkmcnt(1)
	v_mul_f32_e32 v134, v79, v55
	s_waitcnt vmcnt(4) lgkmcnt(0)
	v_mul_f32_e32 v139, v74, v63
	s_waitcnt vmcnt(3)
	v_mul_f32_e32 v140, v77, v57
	v_mul_f32_e32 v142, v110, v59
	;; [unrolled: 1-line block ×7, first 2 shown]
	v_fma_f32 v72, v72, v52, -v82
	v_fmac_f32_e32 v83, v73, v52
	v_fma_f32 v73, v78, v54, -v134
	v_fmac_f32_e32 v139, v75, v62
	v_fma_f32 v75, v76, v56, -v140
	v_fma_f32 v76, v109, v58, -v142
	v_mul_f32_e32 v137, v80, v61
	s_waitcnt vmcnt(2)
	v_mul_f32_e32 v147, v64, v31
	s_waitcnt vmcnt(1)
	v_mul_f32_e32 v148, v85, v37
	v_fmac_f32_e32 v135, v79, v54
	v_fma_f32 v78, v80, v60, -v136
	v_fma_f32 v74, v74, v62, -v138
	v_fmac_f32_e32 v141, v77, v56
	v_fmac_f32_e32 v143, v110, v58
	v_add_f32_e32 v77, v72, v76
	v_add_f32_e32 v80, v73, v75
	v_mul_f32_e32 v145, v68, v29
	v_mul_f32_e32 v146, v65, v31
	;; [unrolled: 1-line block ×4, first 2 shown]
	v_fmac_f32_e32 v137, v81, v60
	v_fmac_f32_e32 v147, v65, v30
	v_fma_f32 v65, v84, v36, -v148
	v_add_f32_e32 v79, v83, v143
	v_add_f32_e32 v81, v135, v141
	;; [unrolled: 1-line block ×4, first 2 shown]
	v_mul_f32_e32 v144, v69, v29
	v_mul_f32_e32 v151, v86, v39
	s_waitcnt vmcnt(0)
	v_mul_f32_e32 v153, v88, v33
	v_mul_f32_e32 v154, v112, v35
	v_fmac_f32_e32 v145, v69, v28
	v_fmac_f32_e32 v149, v85, v36
	v_fma_f32 v69, v86, v38, -v150
	v_sub_f32_e32 v72, v72, v76
	v_sub_f32_e32 v76, v83, v143
	;; [unrolled: 1-line block ×3, first 2 shown]
	v_add_f32_e32 v83, v137, v139
	v_sub_f32_e32 v74, v74, v78
	v_add_f32_e32 v85, v81, v79
	v_sub_f32_e32 v86, v80, v77
	v_sub_f32_e32 v77, v77, v82
	;; [unrolled: 1-line block ×3, first 2 shown]
	v_add_f32_e32 v82, v82, v84
	v_mul_f32_e32 v152, v89, v33
	v_mul_f32_e32 v155, v111, v35
	v_fmac_f32_e32 v151, v87, v38
	v_fmac_f32_e32 v153, v89, v32
	v_fma_f32 v89, v111, v34, -v154
	v_sub_f32_e32 v75, v135, v141
	v_sub_f32_e32 v78, v139, v137
	;; [unrolled: 1-line block ×5, first 2 shown]
	v_add_f32_e32 v109, v74, v73
	v_sub_f32_e32 v111, v74, v73
	v_sub_f32_e32 v134, v72, v74
	v_add_f32_e32 v83, v83, v85
	v_add_f32_e32 v74, v70, v82
	v_fmac_f32_e32 v155, v112, v34
	v_add_f32_e32 v110, v78, v75
	v_sub_f32_e32 v112, v78, v75
	v_sub_f32_e32 v73, v73, v72
	;; [unrolled: 1-line block ×3, first 2 shown]
	v_add_f32_e32 v72, v109, v72
	v_add_f32_e32 v75, v71, v83
	v_mul_f32_e32 v109, 0xbf08b237, v111
	v_mov_b32_e32 v111, v74
	v_sub_f32_e32 v78, v76, v78
	v_add_f32_e32 v76, v110, v76
	v_mul_f32_e32 v70, 0x3f4a47b2, v77
	v_mul_f32_e32 v71, 0x3f4a47b2, v79
	;; [unrolled: 1-line block ×5, first 2 shown]
	v_fmac_f32_e32 v111, 0xbf955555, v82
	v_mov_b32_e32 v82, v75
	v_mul_f32_e32 v84, 0x3f5ff5aa, v73
	v_mul_f32_e32 v85, 0x3f5ff5aa, v135
	v_fmac_f32_e32 v82, 0xbf955555, v83
	v_fma_f32 v77, v86, s14, -v77
	v_fma_f32 v79, v87, s14, -v79
	;; [unrolled: 1-line block ×3, first 2 shown]
	v_fmac_f32_e32 v70, 0x3d64c772, v80
	v_fma_f32 v73, v73, s12, -v109
	v_fma_f32 v86, v135, s12, -v110
	v_fmac_f32_e32 v110, 0x3eae86e6, v78
	v_fma_f32 v68, v68, v28, -v144
	v_fma_f32 v64, v64, v30, -v146
	;; [unrolled: 1-line block ×4, first 2 shown]
	v_fmac_f32_e32 v71, 0x3d64c772, v81
	v_fmac_f32_e32 v109, 0x3eae86e6, v134
	v_fma_f32 v87, v134, s16, -v84
	v_fma_f32 v84, v78, s16, -v85
	v_add_f32_e32 v70, v70, v111
	v_add_f32_e32 v85, v77, v111
	;; [unrolled: 1-line block ×3, first 2 shown]
	v_fmac_f32_e32 v110, 0x3ee1c552, v76
	v_fmac_f32_e32 v73, 0x3ee1c552, v72
	;; [unrolled: 1-line block ×3, first 2 shown]
	v_add_f32_e32 v71, v71, v82
	v_add_f32_e32 v111, v83, v111
	;; [unrolled: 1-line block ×3, first 2 shown]
	v_fmac_f32_e32 v109, 0x3ee1c552, v72
	v_fmac_f32_e32 v87, 0x3ee1c552, v72
	;; [unrolled: 1-line block ×3, first 2 shown]
	v_add_f32_e32 v76, v110, v70
	v_sub_f32_e32 v80, v85, v86
	v_add_f32_e32 v81, v73, v112
	v_add_f32_e32 v82, v86, v85
	v_sub_f32_e32 v83, v112, v73
	v_sub_f32_e32 v86, v70, v110
	v_add_f32_e32 v70, v68, v89
	v_add_f32_e32 v73, v64, v88
	v_sub_f32_e32 v77, v71, v109
	v_add_f32_e32 v78, v84, v111
	v_sub_f32_e32 v79, v134, v87
	v_sub_f32_e32 v84, v111, v84
	v_add_f32_e32 v85, v87, v134
	v_add_f32_e32 v87, v109, v71
	;; [unrolled: 1-line block ×3, first 2 shown]
	v_sub_f32_e32 v68, v68, v89
	v_add_f32_e32 v89, v147, v153
	v_sub_f32_e32 v64, v64, v88
	v_sub_f32_e32 v88, v147, v153
	v_add_f32_e32 v109, v65, v69
	v_sub_f32_e32 v65, v69, v65
	;; [unrolled: 3-line block ×3, first 2 shown]
	v_add_f32_e32 v110, v149, v151
	v_add_f32_e32 v112, v89, v71
	v_sub_f32_e32 v134, v73, v70
	v_sub_f32_e32 v70, v70, v109
	;; [unrolled: 1-line block ×3, first 2 shown]
	v_add_f32_e32 v137, v69, v88
	v_add_f32_e32 v109, v109, v111
	v_sub_f32_e32 v135, v89, v71
	v_sub_f32_e32 v71, v71, v110
	;; [unrolled: 1-line block ×3, first 2 shown]
	v_add_f32_e32 v73, v65, v64
	v_sub_f32_e32 v139, v69, v88
	v_sub_f32_e32 v69, v72, v69
	;; [unrolled: 1-line block ×3, first 2 shown]
	v_add_f32_e32 v110, v110, v112
	v_add_f32_e32 v111, v137, v72
	;; [unrolled: 1-line block ×3, first 2 shown]
	v_sub_f32_e32 v138, v65, v64
	v_sub_f32_e32 v65, v68, v65
	;; [unrolled: 1-line block ×3, first 2 shown]
	v_add_f32_e32 v68, v73, v68
	v_add_f32_e32 v73, v67, v110
	v_mov_b32_e32 v140, v72
	v_mul_f32_e32 v66, 0x3f4a47b2, v70
	v_mul_f32_e32 v67, 0x3f4a47b2, v71
	;; [unrolled: 1-line block ×8, first 2 shown]
	v_fmac_f32_e32 v140, 0xbf955555, v109
	v_mov_b32_e32 v109, v73
	v_fmac_f32_e32 v109, 0xbf955555, v110
	v_fma_f32 v70, v134, s14, -v70
	v_fma_f32 v71, v135, s14, -v71
	v_fma_f32 v110, v134, s15, -v66
	v_fmac_f32_e32 v66, 0x3d64c772, v136
	v_fma_f32 v134, v135, s15, -v67
	v_fmac_f32_e32 v67, 0x3d64c772, v89
	v_fma_f32 v89, v64, s12, -v112
	;; [unrolled: 2-line block ×4, first 2 shown]
	v_fma_f32 v136, v69, s16, -v139
	v_add_f32_e32 v138, v66, v140
	v_add_f32_e32 v139, v67, v109
	;; [unrolled: 1-line block ×6, first 2 shown]
	v_fmac_f32_e32 v112, 0x3ee1c552, v68
	v_fmac_f32_e32 v137, 0x3ee1c552, v111
	;; [unrolled: 1-line block ×6, first 2 shown]
	v_add_f32_e32 v64, v137, v138
	v_sub_f32_e32 v65, v139, v112
	v_add_f32_e32 v109, v136, v71
	v_sub_f32_e32 v110, v134, v135
	v_sub_f32_e32 v66, v69, v88
	v_add_f32_e32 v67, v89, v70
	v_add_f32_e32 v68, v88, v69
	v_sub_f32_e32 v69, v70, v89
	v_sub_f32_e32 v70, v71, v136
	v_add_f32_e32 v71, v135, v134
	v_sub_f32_e32 v88, v138, v137
	v_add_f32_e32 v89, v112, v139
	ds_write2_b64 v113, v[74:75], v[76:77] offset1:162
	ds_write2_b64 v133, v[78:79], v[80:81] offset0:68 offset1:230
	ds_write2_b64 v131, v[82:83], v[84:85] offset0:8 offset1:170
	ds_write_b64 v113, v[86:87] offset:7776
	s_and_saveexec_b64 s[14:15], s[4:5]
	s_cbranch_execz .LBB0_11
; %bb.10:
	v_add_u32_e32 v74, 0x200, v113
	ds_write2_b64 v74, v[72:73], v[64:65] offset0:62 offset1:224
	v_add_u32_e32 v72, 0xc00, v113
	ds_write2_b64 v72, v[109:110], v[66:67] offset0:66 offset1:228
	v_add_u32_e32 v72, 0x1800, v113
	ds_write2_b64 v72, v[68:69], v[70:71] offset0:6 offset1:168
	ds_write_b64 v113, v[88:89] offset:8784
.LBB0_11:
	s_or_b64 exec, exec, s[14:15]
	v_mov_b32_e32 v72, s13
	v_addc_co_u32_e64 v76, vcc, 0, v72, s[2:3]
	v_add_co_u32_e32 v72, vcc, 0x2370, v90
	s_mov_b64 s[2:3], vcc
	v_add_co_u32_e32 v73, vcc, 0x2000, v90
	v_addc_co_u32_e32 v74, vcc, 0, v76, vcc
	s_waitcnt lgkmcnt(0)
	s_barrier
	global_load_dwordx2 v[81:82], v[73:74], off offset:880
	v_addc_co_u32_e64 v73, vcc, 0, v76, s[2:3]
	global_load_dwordx2 v[85:86], v[72:73], off offset:1008
	v_add_co_u32_e32 v74, vcc, 0x3000, v90
	v_addc_co_u32_e32 v75, vcc, 0, v76, vcc
	global_load_dwordx2 v[111:112], v[74:75], off offset:1320
	global_load_dwordx2 v[137:138], v[72:73], off offset:2016
	;; [unrolled: 1-line block ×5, first 2 shown]
	v_add_co_u32_e32 v74, vcc, 0x4000, v90
	v_addc_co_u32_e32 v75, vcc, 0, v76, vcc
	global_load_dwordx2 v[145:146], v[74:75], off offset:248
	ds_read2_b64 v[76:79], v113 offset1:126
	v_add_u32_e32 v75, 0x1000, v113
	v_add_u32_e32 v74, 0x400, v113
	;; [unrolled: 1-line block ×5, first 2 shown]
	s_waitcnt vmcnt(7) lgkmcnt(0)
	v_mul_f32_e32 v84, v77, v82
	v_mul_f32_e32 v83, v76, v82
	v_fma_f32 v82, v76, v81, -v84
	v_fmac_f32_e32 v83, v77, v81
	ds_write_b64 v113, v[82:83]
	s_waitcnt vmcnt(6)
	v_mul_f32_e32 v133, v79, v86
	v_mul_f32_e32 v87, v78, v86
	ds_read2_b64 v[81:84], v75 offset0:55 offset1:181
	v_fma_f32 v86, v78, v85, -v133
	v_fmac_f32_e32 v87, v79, v85
	ds_read2_b64 v[76:79], v74 offset0:124 offset1:250
	ds_read2_b64 v[133:136], v80 offset0:51 offset1:177
	s_waitcnt vmcnt(5) lgkmcnt(2)
	v_mul_f32_e32 v149, v82, v112
	v_mul_f32_e32 v147, v81, v112
	s_waitcnt vmcnt(3)
	v_mul_f32_e32 v112, v83, v140
	s_waitcnt lgkmcnt(1)
	v_mul_f32_e32 v151, v77, v138
	v_mul_f32_e32 v85, v76, v138
	;; [unrolled: 1-line block ×3, first 2 shown]
	s_waitcnt vmcnt(2) lgkmcnt(0)
	v_mul_f32_e32 v152, v134, v142
	v_mul_f32_e32 v138, v133, v142
	s_waitcnt vmcnt(1)
	v_mul_f32_e32 v153, v79, v144
	v_mul_f32_e32 v140, v78, v144
	s_waitcnt vmcnt(0)
	v_mul_f32_e32 v144, v136, v146
	v_mul_f32_e32 v142, v135, v146
	v_fmac_f32_e32 v112, v84, v139
	v_fma_f32 v84, v76, v137, -v151
	v_fmac_f32_e32 v85, v77, v137
	v_fma_f32 v146, v81, v111, -v149
	;; [unrolled: 2-line block ×3, first 2 shown]
	v_fma_f32 v137, v133, v141, -v152
	v_fmac_f32_e32 v138, v134, v141
	v_fma_f32 v139, v78, v143, -v153
	v_fmac_f32_e32 v140, v79, v143
	v_fma_f32 v141, v135, v145, -v144
	v_fmac_f32_e32 v142, v136, v145
	ds_write2_b64 v113, v[86:87], v[84:85] offset0:126 offset1:252
	ds_write2_b64 v131, v[111:112], v[137:138] offset0:53 offset1:179
	;; [unrolled: 1-line block ×3, first 2 shown]
	ds_write_b64 v113, v[141:142] offset:7560
	s_and_saveexec_b64 s[2:3], s[0:1]
	s_cbranch_execz .LBB0_13
; %bb.12:
	global_load_dwordx2 v[76:77], v[72:73], off offset:4032
	v_add_co_u32_e32 v72, vcc, 0x2000, v72
	v_addc_co_u32_e32 v73, vcc, 0, v73, vcc
	global_load_dwordx2 v[72:73], v[72:73], off offset:376
	ds_read_b64 v[78:79], v113 offset:4032
	ds_read_b64 v[81:82], v113 offset:8568
	s_waitcnt vmcnt(1) lgkmcnt(1)
	v_mul_f32_e32 v83, v79, v77
	v_mul_f32_e32 v84, v78, v77
	v_fma_f32 v83, v78, v76, -v83
	v_fmac_f32_e32 v84, v79, v76
	ds_write_b64 v113, v[83:84] offset:4032
	s_waitcnt vmcnt(0) lgkmcnt(1)
	v_mul_f32_e32 v76, v82, v73
	v_mul_f32_e32 v77, v81, v73
	v_fma_f32 v76, v81, v72, -v76
	v_fmac_f32_e32 v77, v82, v72
	ds_write_b64 v113, v[76:77] offset:8568
.LBB0_13:
	s_or_b64 exec, exec, s[2:3]
	s_waitcnt lgkmcnt(0)
	s_barrier
	ds_read2_b64 v[76:79], v113 offset1:126
	ds_read2_b64 v[84:87], v75 offset0:55 offset1:181
	ds_read2_b64 v[72:75], v74 offset0:124 offset1:250
	;; [unrolled: 1-line block ×3, first 2 shown]
	v_add_u32_e32 v111, 0x17a0, v119
	s_and_saveexec_b64 s[2:3], s[0:1]
	s_cbranch_execz .LBB0_15
; %bb.14:
	ds_read_b64 v[64:65], v113 offset:4032
	ds_read_b64 v[109:110], v113 offset:8568
.LBB0_15:
	s_or_b64 exec, exec, s[2:3]
	s_waitcnt lgkmcnt(2)
	v_sub_f32_e32 v135, v76, v84
	v_sub_f32_e32 v136, v77, v85
	;; [unrolled: 1-line block ×4, first 2 shown]
	s_waitcnt lgkmcnt(0)
	v_sub_f32_e32 v82, v74, v82
	v_sub_f32_e32 v83, v75, v83
	v_fma_f32 v133, v76, 2.0, -v135
	v_fma_f32 v134, v77, 2.0, -v136
	;; [unrolled: 1-line block ×4, first 2 shown]
	v_sub_f32_e32 v78, v72, v80
	v_sub_f32_e32 v79, v73, v81
	v_fma_f32 v80, v74, 2.0, -v82
	v_fma_f32 v81, v75, 2.0, -v83
	v_sub_f32_e32 v74, v64, v109
	v_sub_f32_e32 v75, v65, v110
	v_fma_f32 v76, v72, 2.0, -v78
	v_fma_f32 v77, v73, 2.0, -v79
	s_barrier
	ds_write_b128 v116, v[133:136]
	ds_write_b128 v117, v[84:87]
	;; [unrolled: 1-line block ×4, first 2 shown]
	s_and_saveexec_b64 s[2:3], s[0:1]
	s_cbranch_execz .LBB0_17
; %bb.16:
	v_fma_f32 v73, v65, 2.0, -v75
	v_fma_f32 v72, v64, 2.0, -v74
	ds_write_b128 v115, v[72:75]
.LBB0_17:
	s_or_b64 exec, exec, s[2:3]
	v_add_u32_e32 v65, 0x400, v113
	s_waitcnt lgkmcnt(0)
	s_barrier
	ds_read2_b64 v[80:83], v65 offset0:124 offset1:250
	v_add_u32_e32 v72, 0x1400, v113
	ds_read2_b64 v[84:87], v72 offset0:116 offset1:242
	v_add_u32_e32 v64, 0xc00, v113
	ds_read2_b64 v[76:79], v113 offset1:126
	ds_read2_b64 v[109:112], v64 offset0:120 offset1:246
	ds_read_b64 v[115:116], v113 offset:8064
	s_waitcnt lgkmcnt(4)
	v_mul_f32_e32 v73, v1, v83
	v_fmac_f32_e32 v73, v0, v82
	v_mul_f32_e32 v82, v1, v82
	v_fma_f32 v82, v0, v83, -v82
	s_waitcnt lgkmcnt(3)
	v_mul_f32_e32 v83, v3, v85
	v_fmac_f32_e32 v83, v2, v84
	v_mul_f32_e32 v84, v3, v84
	v_fma_f32 v84, v2, v85, -v84
	;; [unrolled: 5-line block ×3, first 2 shown]
	v_mul_f32_e32 v110, v3, v87
	v_mul_f32_e32 v117, v1, v112
	;; [unrolled: 1-line block ×3, first 2 shown]
	v_fmac_f32_e32 v110, v2, v86
	v_mul_f32_e32 v86, v3, v86
	v_fmac_f32_e32 v117, v0, v111
	v_fma_f32 v111, v0, v112, -v1
	s_waitcnt lgkmcnt(0)
	v_mul_f32_e32 v112, v3, v116
	v_mul_f32_e32 v0, v3, v115
	v_add_f32_e32 v1, v73, v83
	v_fma_f32 v86, v2, v87, -v86
	v_fmac_f32_e32 v112, v2, v115
	v_fma_f32 v115, v2, v116, -v0
	v_fma_f32 v2, -0.5, v1, v76
	v_add_f32_e32 v3, v82, v84
	v_add_f32_e32 v0, v76, v73
	v_sub_f32_e32 v1, v82, v84
	v_mov_b32_e32 v76, v2
	v_fma_f32 v3, -0.5, v3, v77
	v_fmac_f32_e32 v76, 0xbf5db3d7, v1
	v_fmac_f32_e32 v2, 0x3f5db3d7, v1
	v_add_f32_e32 v1, v77, v82
	v_sub_f32_e32 v73, v73, v83
	v_mov_b32_e32 v77, v3
	v_fmac_f32_e32 v77, 0x3f5db3d7, v73
	v_fmac_f32_e32 v3, 0xbf5db3d7, v73
	v_add_f32_e32 v73, v78, v85
	v_add_f32_e32 v82, v73, v110
	;; [unrolled: 1-line block ×3, first 2 shown]
	v_fma_f32 v78, -0.5, v73, v78
	v_add_f32_e32 v1, v1, v84
	v_sub_f32_e32 v73, v109, v86
	v_mov_b32_e32 v84, v78
	v_fmac_f32_e32 v84, 0xbf5db3d7, v73
	v_fmac_f32_e32 v78, 0x3f5db3d7, v73
	v_add_f32_e32 v73, v79, v109
	v_add_f32_e32 v0, v0, v83
	v_add_f32_e32 v83, v73, v86
	v_add_f32_e32 v73, v109, v86
	v_fmac_f32_e32 v79, -0.5, v73
	v_sub_f32_e32 v73, v85, v110
	v_mov_b32_e32 v85, v79
	v_fmac_f32_e32 v85, 0x3f5db3d7, v73
	v_fmac_f32_e32 v79, 0xbf5db3d7, v73
	v_add_f32_e32 v73, v80, v117
	v_add_f32_e32 v86, v73, v112
	;; [unrolled: 1-line block ×3, first 2 shown]
	v_fma_f32 v80, -0.5, v73, v80
	v_sub_f32_e32 v73, v111, v115
	v_mov_b32_e32 v109, v80
	v_fmac_f32_e32 v109, 0xbf5db3d7, v73
	v_fmac_f32_e32 v80, 0x3f5db3d7, v73
	v_add_f32_e32 v73, v81, v111
	v_add_f32_e32 v87, v73, v115
	;; [unrolled: 1-line block ×3, first 2 shown]
	v_fmac_f32_e32 v81, -0.5, v73
	v_sub_f32_e32 v73, v117, v112
	v_mov_b32_e32 v110, v81
	v_fmac_f32_e32 v110, 0x3f5db3d7, v73
	v_fmac_f32_e32 v81, 0xbf5db3d7, v73
	s_barrier
	ds_write2_b64 v120, v[0:1], v[76:77] offset1:2
	ds_write_b64 v120, v[2:3] offset:32
	ds_write2_b64 v121, v[82:83], v[84:85] offset1:2
	ds_write_b64 v121, v[78:79] offset:32
	;; [unrolled: 2-line block ×3, first 2 shown]
	s_waitcnt lgkmcnt(0)
	s_barrier
	ds_read2_b64 v[0:3], v65 offset0:124 offset1:250
	ds_read2_b64 v[76:79], v113 offset1:126
	ds_read2_b64 v[80:83], v72 offset0:116 offset1:242
	ds_read2_b64 v[84:87], v64 offset0:120 offset1:246
	ds_read_b64 v[109:110], v113 offset:8064
	s_waitcnt lgkmcnt(4)
	v_mul_f32_e32 v73, v9, v3
	v_fmac_f32_e32 v73, v8, v2
	v_mul_f32_e32 v2, v9, v2
	v_fma_f32 v8, v8, v3, -v2
	s_waitcnt lgkmcnt(2)
	v_mul_f32_e32 v9, v11, v81
	v_mul_f32_e32 v2, v11, v80
	v_fmac_f32_e32 v9, v10, v80
	v_fma_f32 v10, v10, v81, -v2
	s_waitcnt lgkmcnt(1)
	v_mul_f32_e32 v2, v5, v84
	v_fma_f32 v80, v4, v85, -v2
	v_mul_f32_e32 v81, v7, v83
	v_mul_f32_e32 v2, v7, v82
	v_mul_f32_e32 v11, v5, v85
	v_fmac_f32_e32 v81, v6, v82
	v_fma_f32 v82, v6, v83, -v2
	v_mul_f32_e32 v2, v13, v86
	v_add_f32_e32 v3, v73, v9
	v_fmac_f32_e32 v11, v4, v84
	v_fma_f32 v84, v12, v87, -v2
	s_waitcnt lgkmcnt(0)
	v_mul_f32_e32 v2, v15, v109
	v_fma_f32 v4, -0.5, v3, v76
	v_add_f32_e32 v5, v8, v10
	v_mul_f32_e32 v85, v15, v110
	v_fma_f32 v15, v14, v110, -v2
	v_add_f32_e32 v2, v76, v73
	v_sub_f32_e32 v3, v8, v10
	v_mov_b32_e32 v6, v4
	v_fma_f32 v5, -0.5, v5, v77
	v_add_f32_e32 v2, v2, v9
	v_fmac_f32_e32 v6, 0xbf5db3d7, v3
	v_fmac_f32_e32 v4, 0x3f5db3d7, v3
	v_add_f32_e32 v3, v77, v8
	v_sub_f32_e32 v8, v73, v9
	v_mov_b32_e32 v7, v5
	v_add_f32_e32 v9, v11, v81
	v_mul_f32_e32 v83, v13, v87
	v_fmac_f32_e32 v7, 0x3f5db3d7, v8
	v_fmac_f32_e32 v5, 0xbf5db3d7, v8
	v_add_f32_e32 v8, v78, v11
	v_fma_f32 v78, -0.5, v9, v78
	v_fmac_f32_e32 v83, v12, v86
	v_add_f32_e32 v3, v3, v10
	v_sub_f32_e32 v9, v80, v82
	v_mov_b32_e32 v10, v78
	v_add_f32_e32 v12, v80, v82
	v_fmac_f32_e32 v85, v14, v109
	v_fmac_f32_e32 v10, 0xbf5db3d7, v9
	;; [unrolled: 1-line block ×3, first 2 shown]
	v_add_f32_e32 v9, v79, v80
	v_fmac_f32_e32 v79, -0.5, v12
	v_sub_f32_e32 v12, v11, v81
	v_mov_b32_e32 v11, v79
	v_add_f32_e32 v13, v83, v85
	v_fmac_f32_e32 v11, 0x3f5db3d7, v12
	v_fmac_f32_e32 v79, 0xbf5db3d7, v12
	v_add_f32_e32 v12, v0, v83
	v_fma_f32 v0, -0.5, v13, v0
	v_sub_f32_e32 v13, v84, v15
	v_mov_b32_e32 v14, v0
	v_fmac_f32_e32 v14, 0xbf5db3d7, v13
	v_fmac_f32_e32 v0, 0x3f5db3d7, v13
	v_add_f32_e32 v13, v1, v84
	v_add_f32_e32 v13, v13, v15
	;; [unrolled: 1-line block ×3, first 2 shown]
	v_fmac_f32_e32 v1, -0.5, v15
	v_sub_f32_e32 v73, v83, v85
	v_mov_b32_e32 v15, v1
	v_add_f32_e32 v8, v8, v81
	v_add_f32_e32 v9, v9, v82
	;; [unrolled: 1-line block ×3, first 2 shown]
	v_fmac_f32_e32 v15, 0x3f5db3d7, v73
	v_fmac_f32_e32 v1, 0xbf5db3d7, v73
	s_barrier
	ds_write2_b64 v123, v[2:3], v[6:7] offset1:6
	ds_write_b64 v123, v[4:5] offset:96
	ds_write2_b64 v124, v[8:9], v[10:11] offset1:6
	ds_write_b64 v124, v[78:79] offset:96
	;; [unrolled: 2-line block ×3, first 2 shown]
	s_waitcnt lgkmcnt(0)
	s_barrier
	ds_read2_b64 v[0:3], v65 offset0:124 offset1:250
	ds_read2_b64 v[4:7], v113 offset1:126
	ds_read2_b64 v[8:11], v72 offset0:116 offset1:242
	ds_read2_b64 v[12:15], v64 offset0:120 offset1:246
	ds_read_b64 v[76:77], v113 offset:8064
	s_waitcnt lgkmcnt(4)
	v_mul_f32_e32 v73, v21, v3
	v_fmac_f32_e32 v73, v20, v2
	v_mul_f32_e32 v2, v21, v2
	v_fma_f32 v20, v20, v3, -v2
	s_waitcnt lgkmcnt(2)
	v_mul_f32_e32 v2, v23, v8
	v_mul_f32_e32 v21, v23, v9
	v_fma_f32 v9, v22, v9, -v2
	s_waitcnt lgkmcnt(1)
	v_mul_f32_e32 v2, v17, v12
	v_fmac_f32_e32 v21, v22, v8
	v_mul_f32_e32 v22, v17, v13
	v_fma_f32 v13, v16, v13, -v2
	v_mul_f32_e32 v2, v19, v10
	v_fmac_f32_e32 v22, v16, v12
	v_mul_f32_e32 v16, v19, v11
	v_fma_f32 v17, v18, v11, -v2
	;; [unrolled: 4-line block ×3, first 2 shown]
	s_waitcnt lgkmcnt(0)
	v_mul_f32_e32 v2, v27, v76
	v_add_f32_e32 v3, v73, v21
	v_fmac_f32_e32 v18, v24, v14
	v_fma_f32 v24, v26, v77, -v2
	v_add_f32_e32 v2, v4, v73
	v_fma_f32 v4, -0.5, v3, v4
	v_sub_f32_e32 v3, v20, v9
	v_mov_b32_e32 v8, v4
	v_fmac_f32_e32 v8, 0xbf5db3d7, v3
	v_fmac_f32_e32 v4, 0x3f5db3d7, v3
	v_add_f32_e32 v3, v5, v20
	v_add_f32_e32 v3, v3, v9
	;; [unrolled: 1-line block ×3, first 2 shown]
	v_fma_f32 v5, -0.5, v9, v5
	v_sub_f32_e32 v10, v73, v21
	v_mov_b32_e32 v9, v5
	v_add_f32_e32 v11, v22, v16
	v_fmac_f32_e32 v9, 0x3f5db3d7, v10
	v_fmac_f32_e32 v5, 0xbf5db3d7, v10
	v_add_f32_e32 v10, v6, v22
	v_fma_f32 v6, -0.5, v11, v6
	v_sub_f32_e32 v11, v13, v17
	v_mov_b32_e32 v12, v6
	v_mul_f32_e32 v23, v27, v77
	v_fmac_f32_e32 v12, 0xbf5db3d7, v11
	v_fmac_f32_e32 v6, 0x3f5db3d7, v11
	v_add_f32_e32 v11, v7, v13
	v_add_f32_e32 v13, v13, v17
	v_fmac_f32_e32 v23, v26, v76
	v_fmac_f32_e32 v7, -0.5, v13
	v_sub_f32_e32 v14, v22, v16
	v_mov_b32_e32 v13, v7
	v_add_f32_e32 v15, v18, v23
	v_fmac_f32_e32 v13, 0x3f5db3d7, v14
	v_fmac_f32_e32 v7, 0xbf5db3d7, v14
	v_add_f32_e32 v14, v0, v18
	v_fma_f32 v0, -0.5, v15, v0
	v_add_f32_e32 v10, v10, v16
	v_add_f32_e32 v11, v11, v17
	v_sub_f32_e32 v15, v19, v24
	v_mov_b32_e32 v16, v0
	v_add_f32_e32 v17, v19, v24
	v_fmac_f32_e32 v16, 0xbf5db3d7, v15
	v_fmac_f32_e32 v0, 0x3f5db3d7, v15
	v_add_f32_e32 v15, v1, v19
	v_fmac_f32_e32 v1, -0.5, v17
	v_sub_f32_e32 v18, v18, v23
	v_mov_b32_e32 v17, v1
	v_add_f32_e32 v2, v2, v21
	v_add_f32_e32 v14, v14, v23
	;; [unrolled: 1-line block ×3, first 2 shown]
	v_fmac_f32_e32 v17, 0x3f5db3d7, v18
	v_fmac_f32_e32 v1, 0xbf5db3d7, v18
	s_barrier
	ds_write2_b64 v126, v[2:3], v[8:9] offset1:18
	ds_write_b64 v126, v[4:5] offset:288
	ds_write2_b64 v127, v[10:11], v[12:13] offset1:18
	ds_write_b64 v127, v[6:7] offset:288
	;; [unrolled: 2-line block ×3, first 2 shown]
	s_waitcnt lgkmcnt(0)
	s_barrier
	ds_read2_b64 v[0:3], v65 offset0:124 offset1:250
	ds_read2_b64 v[4:7], v113 offset1:126
	ds_read2_b64 v[8:11], v72 offset0:116 offset1:242
	ds_read2_b64 v[12:15], v64 offset0:120 offset1:246
	ds_read_b64 v[16:17], v113 offset:8064
	s_waitcnt lgkmcnt(4)
	v_mul_f32_e32 v18, v45, v3
	v_fmac_f32_e32 v18, v44, v2
	v_mul_f32_e32 v2, v45, v2
	v_fma_f32 v2, v44, v3, -v2
	s_waitcnt lgkmcnt(2)
	v_mul_f32_e32 v3, v47, v9
	v_fmac_f32_e32 v3, v46, v8
	v_mul_f32_e32 v8, v47, v8
	v_fma_f32 v19, v46, v9, -v8
	s_waitcnt lgkmcnt(1)
	v_mul_f32_e32 v8, v41, v12
	v_fma_f32 v21, v40, v13, -v8
	v_mul_f32_e32 v8, v43, v10
	v_fma_f32 v23, v42, v11, -v8
	v_mul_f32_e32 v8, v49, v14
	v_fma_f32 v25, v48, v15, -v8
	s_waitcnt lgkmcnt(0)
	v_mul_f32_e32 v8, v51, v16
	v_add_f32_e32 v9, v18, v3
	v_mul_f32_e32 v22, v43, v11
	v_fma_f32 v27, v50, v17, -v8
	v_add_f32_e32 v8, v4, v18
	v_fma_f32 v4, -0.5, v9, v4
	v_fmac_f32_e32 v22, v42, v10
	v_sub_f32_e32 v9, v2, v19
	v_mov_b32_e32 v10, v4
	v_fmac_f32_e32 v10, 0xbf5db3d7, v9
	v_fmac_f32_e32 v4, 0x3f5db3d7, v9
	v_add_f32_e32 v9, v5, v2
	v_add_f32_e32 v2, v2, v19
	v_mul_f32_e32 v20, v41, v13
	v_fma_f32 v5, -0.5, v2, v5
	v_fmac_f32_e32 v20, v40, v12
	v_sub_f32_e32 v2, v18, v3
	v_mov_b32_e32 v11, v5
	v_fmac_f32_e32 v11, 0x3f5db3d7, v2
	v_fmac_f32_e32 v5, 0xbf5db3d7, v2
	v_add_f32_e32 v2, v6, v20
	v_add_f32_e32 v12, v2, v22
	;; [unrolled: 1-line block ×3, first 2 shown]
	v_mul_f32_e32 v24, v49, v15
	v_fma_f32 v6, -0.5, v2, v6
	v_fmac_f32_e32 v24, v48, v14
	v_sub_f32_e32 v2, v21, v23
	v_mov_b32_e32 v14, v6
	v_fmac_f32_e32 v14, 0xbf5db3d7, v2
	v_fmac_f32_e32 v6, 0x3f5db3d7, v2
	v_add_f32_e32 v2, v7, v21
	v_add_f32_e32 v13, v2, v23
	;; [unrolled: 1-line block ×3, first 2 shown]
	v_fmac_f32_e32 v7, -0.5, v2
	v_mul_f32_e32 v26, v51, v17
	v_sub_f32_e32 v2, v20, v22
	v_mov_b32_e32 v15, v7
	v_fmac_f32_e32 v26, v50, v16
	v_fmac_f32_e32 v15, 0x3f5db3d7, v2
	;; [unrolled: 1-line block ×3, first 2 shown]
	v_add_f32_e32 v2, v0, v24
	v_add_f32_e32 v16, v2, v26
	;; [unrolled: 1-line block ×3, first 2 shown]
	v_fma_f32 v0, -0.5, v2, v0
	v_add_f32_e32 v8, v8, v3
	v_sub_f32_e32 v3, v25, v27
	v_mov_b32_e32 v2, v0
	v_fmac_f32_e32 v2, 0xbf5db3d7, v3
	v_fmac_f32_e32 v0, 0x3f5db3d7, v3
	v_add_f32_e32 v3, v1, v25
	v_add_f32_e32 v17, v3, v27
	;; [unrolled: 1-line block ×3, first 2 shown]
	v_fmac_f32_e32 v1, -0.5, v3
	v_add_f32_e32 v9, v9, v19
	v_sub_f32_e32 v18, v24, v26
	v_mov_b32_e32 v3, v1
	v_add_u32_e32 v20, 0x800, v113
	v_fmac_f32_e32 v3, 0x3f5db3d7, v18
	v_fmac_f32_e32 v1, 0xbf5db3d7, v18
	s_barrier
	ds_write2_b64 v129, v[8:9], v[10:11] offset1:54
	ds_write_b64 v129, v[4:5] offset:864
	ds_write2_b64 v130, v[12:13], v[14:15] offset1:54
	ds_write_b64 v130, v[6:7] offset:864
	;; [unrolled: 2-line block ×3, first 2 shown]
	s_waitcnt lgkmcnt(0)
	s_barrier
	ds_read2_b64 v[6:9], v113 offset1:162
	ds_read2_b64 v[14:17], v20 offset0:68 offset1:230
	ds_read2_b64 v[10:13], v72 offset0:8 offset1:170
	ds_read_b64 v[18:19], v113 offset:7776
	s_and_saveexec_b64 s[2:3], s[4:5]
	s_cbranch_execz .LBB0_19
; %bb.18:
	v_add_u32_e32 v0, 0x200, v113
	ds_read2_b64 v[64:67], v64 offset0:66 offset1:228
	ds_read2_b64 v[2:5], v0 offset0:62 offset1:224
	v_add_u32_e32 v0, 0x1800, v113
	ds_read2_b64 v[68:71], v0 offset0:6 offset1:168
	ds_read_b64 v[88:89], v113 offset:8784
	s_waitcnt lgkmcnt(3)
	v_mov_b32_e32 v74, v64
	v_mov_b32_e32 v75, v65
	s_waitcnt lgkmcnt(2)
	v_mov_b32_e32 v0, v4
	v_mov_b32_e32 v1, v5
.LBB0_19:
	s_or_b64 exec, exec, s[2:3]
	s_waitcnt lgkmcnt(3)
	v_mul_f32_e32 v4, v53, v9
	v_fmac_f32_e32 v4, v52, v8
	v_mul_f32_e32 v5, v53, v8
	s_waitcnt lgkmcnt(2)
	v_mul_f32_e32 v8, v55, v15
	v_fma_f32 v5, v52, v9, -v5
	v_fmac_f32_e32 v8, v54, v14
	v_mul_f32_e32 v9, v55, v14
	v_mul_f32_e32 v14, v61, v17
	v_fma_f32 v9, v54, v15, -v9
	v_fmac_f32_e32 v14, v60, v16
	v_mul_f32_e32 v15, v61, v16
	s_waitcnt lgkmcnt(1)
	v_mul_f32_e32 v16, v63, v11
	v_fmac_f32_e32 v16, v62, v10
	v_mul_f32_e32 v10, v63, v10
	v_fma_f32 v10, v62, v11, -v10
	v_mul_f32_e32 v11, v57, v13
	v_fmac_f32_e32 v11, v56, v12
	v_mul_f32_e32 v12, v57, v12
	v_fma_f32 v12, v56, v13, -v12
	s_waitcnt lgkmcnt(0)
	v_mul_f32_e32 v13, v59, v19
	v_fma_f32 v15, v60, v17, -v15
	v_fmac_f32_e32 v13, v58, v18
	v_mul_f32_e32 v17, v59, v18
	v_fma_f32 v17, v58, v19, -v17
	v_add_f32_e32 v18, v4, v13
	v_sub_f32_e32 v4, v4, v13
	v_add_f32_e32 v13, v8, v11
	v_add_f32_e32 v19, v5, v17
	v_sub_f32_e32 v5, v5, v17
	v_add_f32_e32 v17, v9, v12
	v_sub_f32_e32 v8, v8, v11
	v_sub_f32_e32 v9, v9, v12
	v_add_f32_e32 v11, v14, v16
	v_add_f32_e32 v12, v15, v10
	v_sub_f32_e32 v14, v16, v14
	v_sub_f32_e32 v10, v10, v15
	v_add_f32_e32 v15, v13, v18
	v_add_f32_e32 v16, v17, v19
	v_sub_f32_e32 v21, v13, v18
	v_sub_f32_e32 v18, v18, v11
	;; [unrolled: 1-line block ×3, first 2 shown]
	v_add_f32_e32 v23, v14, v8
	v_add_f32_e32 v11, v11, v15
	v_sub_f32_e32 v22, v17, v19
	v_sub_f32_e32 v19, v19, v12
	;; [unrolled: 1-line block ×3, first 2 shown]
	v_add_f32_e32 v24, v10, v9
	v_sub_f32_e32 v25, v14, v8
	v_sub_f32_e32 v14, v4, v14
	v_sub_f32_e32 v8, v8, v4
	v_add_f32_e32 v12, v12, v16
	v_add_f32_e32 v15, v23, v4
	;; [unrolled: 1-line block ×3, first 2 shown]
	v_sub_f32_e32 v26, v10, v9
	v_sub_f32_e32 v10, v5, v10
	;; [unrolled: 1-line block ×3, first 2 shown]
	v_add_f32_e32 v16, v24, v5
	v_add_f32_e32 v5, v7, v12
	v_mov_b32_e32 v27, v4
	v_mul_f32_e32 v6, 0x3f4a47b2, v18
	v_mul_f32_e32 v7, 0x3f4a47b2, v19
	;; [unrolled: 1-line block ×6, first 2 shown]
	s_mov_b32 s12, 0xbf5ff5aa
	v_fmac_f32_e32 v27, 0xbf955555, v11
	v_mov_b32_e32 v11, v5
	s_mov_b32 s13, 0x3f3bfb3b
	s_mov_b32 s14, 0xbf3bfb3b
	v_mul_f32_e32 v25, 0xbf5ff5aa, v8
	v_mul_f32_e32 v26, 0xbf5ff5aa, v9
	v_fmac_f32_e32 v11, 0xbf955555, v12
	v_fma_f32 v12, v21, s13, -v18
	v_fma_f32 v18, v22, s13, -v19
	;; [unrolled: 1-line block ×3, first 2 shown]
	v_fmac_f32_e32 v6, 0x3d64c772, v13
	v_fma_f32 v13, v22, s14, -v7
	v_fmac_f32_e32 v7, 0x3d64c772, v17
	v_fma_f32 v17, v8, s12, -v23
	;; [unrolled: 2-line block ×3, first 2 shown]
	v_fmac_f32_e32 v24, 0xbeae86e6, v10
	s_mov_b32 s15, 0x3eae86e6
	v_fma_f32 v22, v14, s15, -v25
	v_fma_f32 v14, v10, s15, -v26
	v_add_f32_e32 v25, v6, v27
	v_add_f32_e32 v26, v7, v11
	v_fmac_f32_e32 v23, 0xbee1c552, v15
	v_fmac_f32_e32 v24, 0xbee1c552, v16
	v_add_f32_e32 v12, v12, v27
	v_add_f32_e32 v18, v18, v11
	;; [unrolled: 1-line block ×4, first 2 shown]
	v_fmac_f32_e32 v17, 0xbee1c552, v15
	v_fmac_f32_e32 v21, 0xbee1c552, v16
	;; [unrolled: 1-line block ×4, first 2 shown]
	v_add_f32_e32 v6, v24, v25
	v_sub_f32_e32 v7, v26, v23
	v_add_f32_e32 v8, v14, v19
	v_sub_f32_e32 v9, v27, v22
	v_sub_f32_e32 v10, v12, v21
	v_add_f32_e32 v11, v17, v18
	v_add_f32_e32 v12, v21, v12
	v_sub_f32_e32 v13, v18, v17
	v_sub_f32_e32 v14, v19, v14
	v_add_f32_e32 v15, v22, v27
	v_sub_f32_e32 v16, v25, v24
	v_add_f32_e32 v17, v23, v26
	ds_write2_b64 v113, v[4:5], v[6:7] offset1:162
	ds_write2_b64 v20, v[8:9], v[10:11] offset0:68 offset1:230
	ds_write2_b64 v72, v[12:13], v[14:15] offset0:8 offset1:170
	ds_write_b64 v113, v[16:17] offset:7776
	s_and_saveexec_b64 s[2:3], s[4:5]
	s_cbranch_execz .LBB0_21
; %bb.20:
	v_mul_f32_e32 v4, v29, v1
	v_fmac_f32_e32 v4, v28, v0
	v_mul_f32_e32 v0, v29, v0
	v_fma_f32 v17, v28, v1, -v0
	v_mul_f32_e32 v0, v37, v66
	v_mul_f32_e32 v16, v35, v88
	v_fma_f32 v19, v36, v67, -v0
	v_mul_f32_e32 v0, v39, v68
	v_fma_f32 v16, v34, v89, -v16
	v_fma_f32 v20, v38, v69, -v0
	v_add_f32_e32 v18, v16, v17
	v_add_f32_e32 v0, v19, v20
	v_sub_f32_e32 v1, v18, v0
	v_mul_f32_e32 v21, 0x3f4a47b2, v1
	v_mul_f32_e32 v1, v33, v70
	v_fma_f32 v22, v32, v71, -v1
	v_mul_f32_e32 v1, v31, v74
	v_fma_f32 v23, v30, v75, -v1
	v_add_f32_e32 v24, v22, v23
	v_sub_f32_e32 v1, v0, v24
	v_mov_b32_e32 v26, v21
	v_mul_f32_e32 v25, 0x3d64c772, v1
	v_fmac_f32_e32 v26, 0x3d64c772, v1
	v_add_f32_e32 v1, v24, v18
	v_add_f32_e32 v0, v0, v1
	v_mul_f32_e32 v5, v35, v89
	v_mul_f32_e32 v7, v39, v69
	;; [unrolled: 1-line block ×3, first 2 shown]
	v_add_f32_e32 v1, v3, v0
	v_fmac_f32_e32 v5, v34, v88
	v_fmac_f32_e32 v7, v38, v68
	;; [unrolled: 1-line block ×3, first 2 shown]
	v_mov_b32_e32 v27, v1
	v_sub_f32_e32 v6, v4, v5
	v_mul_f32_e32 v11, v31, v75
	v_mul_f32_e32 v12, v33, v71
	v_fmac_f32_e32 v27, 0xbf955555, v0
	v_add_f32_e32 v4, v5, v4
	v_add_f32_e32 v0, v8, v7
	v_fmac_f32_e32 v11, v30, v74
	v_fmac_f32_e32 v12, v32, v70
	v_sub_f32_e32 v5, v4, v0
	v_sub_f32_e32 v9, v7, v8
	v_mul_f32_e32 v7, 0x3f4a47b2, v5
	v_add_f32_e32 v8, v12, v11
	v_sub_f32_e32 v13, v11, v12
	v_sub_f32_e32 v5, v0, v8
	v_mov_b32_e32 v12, v7
	v_mul_f32_e32 v11, 0x3d64c772, v5
	v_fmac_f32_e32 v12, 0x3d64c772, v5
	v_add_f32_e32 v5, v8, v4
	v_add_f32_e32 v5, v0, v5
	;; [unrolled: 1-line block ×3, first 2 shown]
	v_mov_b32_e32 v28, v0
	v_sub_f32_e32 v2, v20, v19
	v_sub_f32_e32 v19, v23, v22
	;; [unrolled: 1-line block ×4, first 2 shown]
	v_add_f32_e32 v9, v9, v13
	v_fmac_f32_e32 v28, 0xbf955555, v5
	v_sub_f32_e32 v16, v17, v16
	v_sub_f32_e32 v5, v2, v19
	v_mul_f32_e32 v14, 0x3f08b237, v14
	v_add_f32_e32 v9, v9, v6
	v_sub_f32_e32 v17, v16, v2
	v_mul_f32_e32 v20, 0x3f08b237, v5
	v_add_f32_e32 v2, v2, v19
	v_sub_f32_e32 v6, v13, v6
	v_sub_f32_e32 v8, v8, v4
	v_mov_b32_e32 v15, v14
	v_mov_b32_e32 v22, v20
	v_add_f32_e32 v23, v2, v16
	v_mul_f32_e32 v5, 0xbf5ff5aa, v6
	v_sub_f32_e32 v13, v24, v18
	v_fma_f32 v4, v8, s14, -v7
	v_sub_f32_e32 v16, v19, v16
	v_fmac_f32_e32 v15, 0xbeae86e6, v10
	v_fmac_f32_e32 v22, 0xbeae86e6, v17
	v_fma_f32 v10, v10, s15, -v5
	v_fma_f32 v5, v13, s14, -v21
	v_add_f32_e32 v21, v4, v28
	v_mul_f32_e32 v4, 0xbf5ff5aa, v16
	v_fma_f32 v7, v13, s13, -v25
	v_fma_f32 v14, v6, s12, -v14
	v_fmac_f32_e32 v15, 0xbee1c552, v9
	v_add_f32_e32 v26, v26, v27
	v_add_f32_e32 v12, v12, v28
	v_fmac_f32_e32 v22, 0xbee1c552, v23
	v_fma_f32 v17, v17, s15, -v4
	v_add_f32_e32 v13, v7, v27
	v_fmac_f32_e32 v14, 0xbee1c552, v9
	v_fma_f32 v16, v16, s12, -v20
	v_fma_f32 v6, v8, s13, -v11
	v_sub_f32_e32 v2, v12, v22
	v_fmac_f32_e32 v10, 0xbee1c552, v9
	v_add_f32_e32 v18, v5, v27
	v_fmac_f32_e32 v17, 0xbee1c552, v23
	v_sub_f32_e32 v7, v13, v14
	v_fmac_f32_e32 v16, 0xbee1c552, v23
	v_add_f32_e32 v8, v6, v28
	v_add_f32_e32 v9, v14, v13
	v_sub_f32_e32 v13, v26, v15
	v_add_f32_e32 v12, v22, v12
	v_add_u32_e32 v14, 0x200, v113
	v_add_f32_e32 v5, v10, v18
	v_add_f32_e32 v6, v16, v8
	v_sub_f32_e32 v8, v8, v16
	v_sub_f32_e32 v11, v18, v10
	v_add_f32_e32 v10, v17, v21
	ds_write2_b64 v14, v[0:1], v[12:13] offset0:62 offset1:224
	v_add_u32_e32 v0, 0xc00, v113
	v_sub_f32_e32 v4, v21, v17
	ds_write2_b64 v0, v[10:11], v[8:9] offset0:66 offset1:228
	v_add_u32_e32 v0, 0x1800, v113
	v_add_f32_e32 v3, v15, v26
	ds_write2_b64 v0, v[6:7], v[4:5] offset0:6 offset1:168
	ds_write_b64 v113, v[2:3] offset:8784
.LBB0_21:
	s_or_b64 exec, exec, s[2:3]
	s_waitcnt lgkmcnt(0)
	s_barrier
	ds_read2_b64 v[0:3], v113 offset1:126
	v_mad_u64_u32 v[8:9], s[2:3], s10, v98, 0
	s_mov_b32 s2, 0x8eac7900
	s_mov_b32 s3, 0x3f4ce55c
	s_waitcnt lgkmcnt(0)
	v_mul_f32_e32 v4, v108, v1
	v_fmac_f32_e32 v4, v107, v0
	v_cvt_f64_f32_e32 v[4:5], v4
	v_mul_f32_e32 v0, v108, v0
	v_fma_f32 v0, v107, v1, -v0
	v_cvt_f64_f32_e32 v[0:1], v0
	v_mul_f64 v[4:5], v[4:5], s[2:3]
	v_mad_u64_u32 v[10:11], s[4:5], s8, v114, 0
	v_mov_b32_e32 v6, v9
	v_mad_u64_u32 v[6:7], s[4:5], s11, v98, v[6:7]
	v_mul_f64 v[0:1], v[0:1], s[2:3]
	v_cvt_f32_f64_e32 v12, v[4:5]
	v_mov_b32_e32 v4, v11
	v_mad_u64_u32 v[14:15], s[4:5], s9, v114, v[4:5]
	v_add_u32_e32 v4, 0x1000, v113
	v_mov_b32_e32 v9, v6
	ds_read2_b64 v[4:7], v4 offset0:55 offset1:181
	v_cvt_f32_f64_e32 v13, v[0:1]
	v_lshlrev_b64 v[0:1], 3, v[8:9]
	v_mov_b32_e32 v11, v14
	v_mov_b32_e32 v14, s7
	s_waitcnt lgkmcnt(0)
	v_mul_f32_e32 v8, v106, v5
	v_fmac_f32_e32 v8, v105, v4
	v_mul_f32_e32 v4, v106, v4
	v_fma_f32 v4, v105, v5, -v4
	v_cvt_f64_f32_e32 v[8:9], v8
	v_cvt_f64_f32_e32 v[4:5], v4
	v_add_co_u32_e32 v15, vcc, s6, v0
	v_addc_co_u32_e32 v14, vcc, v14, v1, vcc
	v_mul_f64 v[0:1], v[8:9], s[2:3]
	v_mul_f64 v[4:5], v[4:5], s[2:3]
	v_lshlrev_b64 v[8:9], 3, v[10:11]
	s_mul_i32 s4, s9, 0x237
	s_mul_hi_u32 s5, s8, 0x237
	v_add_co_u32_e32 v8, vcc, v15, v8
	s_add_i32 s5, s5, s4
	v_cvt_f32_f64_e32 v0, v[0:1]
	v_cvt_f32_f64_e32 v1, v[4:5]
	v_mul_f32_e32 v4, v104, v3
	v_fmac_f32_e32 v4, v103, v2
	v_mul_f32_e32 v2, v104, v2
	v_fma_f32 v2, v103, v3, -v2
	v_cvt_f64_f32_e32 v[4:5], v4
	v_cvt_f64_f32_e32 v[2:3], v2
	s_mul_i32 s4, s8, 0x237
	v_addc_co_u32_e32 v9, vcc, v14, v9, vcc
	v_mul_f64 v[4:5], v[4:5], s[2:3]
	v_mul_f64 v[2:3], v[2:3], s[2:3]
	s_lshl_b64 s[4:5], s[4:5], 3
	global_store_dwordx2 v[8:9], v[12:13], off
	v_mov_b32_e32 v16, s5
	v_add_co_u32_e32 v8, vcc, s4, v8
	v_addc_co_u32_e32 v9, vcc, v9, v16, vcc
	global_store_dwordx2 v[8:9], v[0:1], off
	v_cvt_f32_f64_e32 v4, v[4:5]
	v_cvt_f32_f64_e32 v5, v[2:3]
	v_mul_f32_e32 v0, v102, v7
	v_mul_f32_e32 v2, v102, v6
	v_fmac_f32_e32 v0, v101, v6
	v_fma_f32 v2, v101, v7, -v2
	v_cvt_f64_f32_e32 v[0:1], v0
	v_cvt_f64_f32_e32 v[2:3], v2
	s_mul_hi_u32 s7, s8, 0xfffffe47
	s_mul_i32 s6, s9, 0xfffffe47
	v_mul_f64 v[6:7], v[0:1], s[2:3]
	v_mul_f64 v[10:11], v[2:3], s[2:3]
	v_add_u32_e32 v0, 0x400, v113
	s_sub_i32 s7, s7, s8
	ds_read2_b64 v[0:3], v0 offset0:124 offset1:250
	s_add_i32 s7, s7, s6
	s_mul_i32 s6, s8, 0xfffffe47
	s_lshl_b64 s[6:7], s[6:7], 3
	v_mov_b32_e32 v17, s7
	v_add_co_u32_e32 v8, vcc, s6, v8
	v_addc_co_u32_e32 v9, vcc, v9, v17, vcc
	global_store_dwordx2 v[8:9], v[4:5], off
	s_waitcnt lgkmcnt(0)
	v_mul_f32_e32 v4, v100, v1
	v_fmac_f32_e32 v4, v99, v0
	v_cvt_f32_f64_e32 v13, v[10:11]
	v_cvt_f64_f32_e32 v[10:11], v4
	v_add_u32_e32 v4, 0x1800, v113
	v_cvt_f32_f64_e32 v12, v[6:7]
	ds_read2_b64 v[4:7], v4 offset0:51 offset1:177
	v_mul_f32_e32 v0, v100, v0
	v_fma_f32 v0, v99, v1, -v0
	v_cvt_f64_f32_e32 v[0:1], v0
	v_mul_f64 v[10:11], v[10:11], s[2:3]
	s_waitcnt lgkmcnt(0)
	v_mul_f32_e32 v14, v97, v5
	v_fmac_f32_e32 v14, v96, v4
	v_mul_f32_e32 v4, v97, v4
	v_fma_f32 v4, v96, v5, -v4
	v_cvt_f64_f32_e32 v[4:5], v4
	v_mul_f64 v[0:1], v[0:1], s[2:3]
	v_cvt_f64_f32_e32 v[14:15], v14
	v_add_co_u32_e32 v8, vcc, s4, v8
	v_mul_f64 v[4:5], v[4:5], s[2:3]
	v_addc_co_u32_e32 v9, vcc, v9, v16, vcc
	global_store_dwordx2 v[8:9], v[12:13], off
	v_mul_f64 v[12:13], v[14:15], s[2:3]
	v_cvt_f32_f64_e32 v10, v[10:11]
	v_cvt_f32_f64_e32 v11, v[0:1]
	v_add_co_u32_e32 v0, vcc, s6, v8
	v_addc_co_u32_e32 v1, vcc, v9, v17, vcc
	v_cvt_f32_f64_e32 v9, v[4:5]
	v_mul_f32_e32 v4, v95, v3
	v_fmac_f32_e32 v4, v94, v2
	v_mul_f32_e32 v2, v95, v2
	global_store_dwordx2 v[0:1], v[10:11], off
	v_fma_f32 v2, v94, v3, -v2
	v_mul_f32_e32 v10, v93, v7
	v_cvt_f64_f32_e32 v[4:5], v4
	v_cvt_f64_f32_e32 v[2:3], v2
	v_fmac_f32_e32 v10, v92, v6
	v_mul_f32_e32 v6, v93, v6
	v_fma_f32 v6, v92, v7, -v6
	v_cvt_f32_f64_e32 v8, v[12:13]
	v_cvt_f64_f32_e32 v[10:11], v10
	v_cvt_f64_f32_e32 v[6:7], v6
	v_add_co_u32_e32 v0, vcc, s4, v0
	v_mul_f64 v[4:5], v[4:5], s[2:3]
	v_mul_f64 v[2:3], v[2:3], s[2:3]
	v_addc_co_u32_e32 v1, vcc, v1, v16, vcc
	global_store_dwordx2 v[0:1], v[8:9], off
	v_mul_f64 v[8:9], v[10:11], s[2:3]
	v_mul_f64 v[6:7], v[6:7], s[2:3]
	v_add_co_u32_e32 v0, vcc, s6, v0
	v_cvt_f32_f64_e32 v4, v[4:5]
	v_cvt_f32_f64_e32 v5, v[2:3]
	v_addc_co_u32_e32 v1, vcc, v1, v17, vcc
	v_cvt_f32_f64_e32 v2, v[8:9]
	v_cvt_f32_f64_e32 v3, v[6:7]
	global_store_dwordx2 v[0:1], v[4:5], off
	v_add_co_u32_e32 v0, vcc, s4, v0
	v_addc_co_u32_e32 v1, vcc, v1, v16, vcc
	global_store_dwordx2 v[0:1], v[2:3], off
	s_and_b64 exec, exec, s[0:1]
	s_cbranch_execz .LBB0_23
; %bb.22:
	global_load_dwordx2 v[2:3], v[90:91], off offset:4032
	s_movk_i32 s0, 0x2000
	v_add_co_u32_e32 v4, vcc, s0, v90
	v_addc_co_u32_e32 v5, vcc, 0, v91, vcc
	global_load_dwordx2 v[4:5], v[4:5], off offset:376
	ds_read_b64 v[6:7], v113 offset:4032
	ds_read_b64 v[8:9], v113 offset:8568
	v_add_co_u32_e32 v0, vcc, s6, v0
	v_mov_b32_e32 v11, s5
	s_waitcnt vmcnt(1) lgkmcnt(1)
	v_mul_f32_e32 v10, v7, v3
	v_mul_f32_e32 v3, v6, v3
	v_fmac_f32_e32 v10, v6, v2
	v_fma_f32 v6, v2, v7, -v3
	v_cvt_f64_f32_e32 v[6:7], v6
	v_cvt_f64_f32_e32 v[2:3], v10
	s_waitcnt vmcnt(0) lgkmcnt(0)
	v_mul_f32_e32 v10, v9, v5
	v_mul_f32_e32 v5, v8, v5
	v_fmac_f32_e32 v10, v8, v4
	v_fma_f32 v8, v4, v9, -v5
	v_mul_f64 v[4:5], v[6:7], s[2:3]
	v_cvt_f64_f32_e32 v[6:7], v10
	v_cvt_f64_f32_e32 v[8:9], v8
	v_mul_f64 v[2:3], v[2:3], s[2:3]
	v_mov_b32_e32 v10, s7
	v_mul_f64 v[6:7], v[6:7], s[2:3]
	v_mul_f64 v[8:9], v[8:9], s[2:3]
	v_addc_co_u32_e32 v1, vcc, v1, v10, vcc
	v_cvt_f32_f64_e32 v2, v[2:3]
	v_cvt_f32_f64_e32 v3, v[4:5]
	;; [unrolled: 1-line block ×4, first 2 shown]
	global_store_dwordx2 v[0:1], v[2:3], off
	v_add_co_u32_e32 v0, vcc, s4, v0
	v_addc_co_u32_e32 v1, vcc, v1, v11, vcc
	global_store_dwordx2 v[0:1], v[4:5], off
.LBB0_23:
	s_endpgm
	.section	.rodata,"a",@progbits
	.p2align	6, 0x0
	.amdhsa_kernel bluestein_single_fwd_len1134_dim1_sp_op_CI_CI
		.amdhsa_group_segment_fixed_size 9072
		.amdhsa_private_segment_fixed_size 0
		.amdhsa_kernarg_size 104
		.amdhsa_user_sgpr_count 6
		.amdhsa_user_sgpr_private_segment_buffer 1
		.amdhsa_user_sgpr_dispatch_ptr 0
		.amdhsa_user_sgpr_queue_ptr 0
		.amdhsa_user_sgpr_kernarg_segment_ptr 1
		.amdhsa_user_sgpr_dispatch_id 0
		.amdhsa_user_sgpr_flat_scratch_init 0
		.amdhsa_user_sgpr_private_segment_size 0
		.amdhsa_uses_dynamic_stack 0
		.amdhsa_system_sgpr_private_segment_wavefront_offset 0
		.amdhsa_system_sgpr_workgroup_id_x 1
		.amdhsa_system_sgpr_workgroup_id_y 0
		.amdhsa_system_sgpr_workgroup_id_z 0
		.amdhsa_system_sgpr_workgroup_info 0
		.amdhsa_system_vgpr_workitem_id 0
		.amdhsa_next_free_vgpr 156
		.amdhsa_next_free_sgpr 20
		.amdhsa_reserve_vcc 1
		.amdhsa_reserve_flat_scratch 0
		.amdhsa_float_round_mode_32 0
		.amdhsa_float_round_mode_16_64 0
		.amdhsa_float_denorm_mode_32 3
		.amdhsa_float_denorm_mode_16_64 3
		.amdhsa_dx10_clamp 1
		.amdhsa_ieee_mode 1
		.amdhsa_fp16_overflow 0
		.amdhsa_exception_fp_ieee_invalid_op 0
		.amdhsa_exception_fp_denorm_src 0
		.amdhsa_exception_fp_ieee_div_zero 0
		.amdhsa_exception_fp_ieee_overflow 0
		.amdhsa_exception_fp_ieee_underflow 0
		.amdhsa_exception_fp_ieee_inexact 0
		.amdhsa_exception_int_div_zero 0
	.end_amdhsa_kernel
	.text
.Lfunc_end0:
	.size	bluestein_single_fwd_len1134_dim1_sp_op_CI_CI, .Lfunc_end0-bluestein_single_fwd_len1134_dim1_sp_op_CI_CI
                                        ; -- End function
	.section	.AMDGPU.csdata,"",@progbits
; Kernel info:
; codeLenInByte = 10504
; NumSgprs: 24
; NumVgprs: 156
; ScratchSize: 0
; MemoryBound: 0
; FloatMode: 240
; IeeeMode: 1
; LDSByteSize: 9072 bytes/workgroup (compile time only)
; SGPRBlocks: 2
; VGPRBlocks: 38
; NumSGPRsForWavesPerEU: 24
; NumVGPRsForWavesPerEU: 156
; Occupancy: 1
; WaveLimiterHint : 1
; COMPUTE_PGM_RSRC2:SCRATCH_EN: 0
; COMPUTE_PGM_RSRC2:USER_SGPR: 6
; COMPUTE_PGM_RSRC2:TRAP_HANDLER: 0
; COMPUTE_PGM_RSRC2:TGID_X_EN: 1
; COMPUTE_PGM_RSRC2:TGID_Y_EN: 0
; COMPUTE_PGM_RSRC2:TGID_Z_EN: 0
; COMPUTE_PGM_RSRC2:TIDIG_COMP_CNT: 0
	.type	__hip_cuid_95f6dd9af4f33823,@object ; @__hip_cuid_95f6dd9af4f33823
	.section	.bss,"aw",@nobits
	.globl	__hip_cuid_95f6dd9af4f33823
__hip_cuid_95f6dd9af4f33823:
	.byte	0                               ; 0x0
	.size	__hip_cuid_95f6dd9af4f33823, 1

	.ident	"AMD clang version 19.0.0git (https://github.com/RadeonOpenCompute/llvm-project roc-6.4.0 25133 c7fe45cf4b819c5991fe208aaa96edf142730f1d)"
	.section	".note.GNU-stack","",@progbits
	.addrsig
	.addrsig_sym __hip_cuid_95f6dd9af4f33823
	.amdgpu_metadata
---
amdhsa.kernels:
  - .args:
      - .actual_access:  read_only
        .address_space:  global
        .offset:         0
        .size:           8
        .value_kind:     global_buffer
      - .actual_access:  read_only
        .address_space:  global
        .offset:         8
        .size:           8
        .value_kind:     global_buffer
      - .actual_access:  read_only
        .address_space:  global
        .offset:         16
        .size:           8
        .value_kind:     global_buffer
      - .actual_access:  read_only
        .address_space:  global
        .offset:         24
        .size:           8
        .value_kind:     global_buffer
      - .actual_access:  read_only
        .address_space:  global
        .offset:         32
        .size:           8
        .value_kind:     global_buffer
      - .offset:         40
        .size:           8
        .value_kind:     by_value
      - .address_space:  global
        .offset:         48
        .size:           8
        .value_kind:     global_buffer
      - .address_space:  global
        .offset:         56
        .size:           8
        .value_kind:     global_buffer
      - .address_space:  global
        .offset:         64
        .size:           8
        .value_kind:     global_buffer
      - .address_space:  global
        .offset:         72
        .size:           8
        .value_kind:     global_buffer
      - .offset:         80
        .size:           4
        .value_kind:     by_value
      - .address_space:  global
        .offset:         88
        .size:           8
        .value_kind:     global_buffer
      - .address_space:  global
        .offset:         96
        .size:           8
        .value_kind:     global_buffer
    .group_segment_fixed_size: 9072
    .kernarg_segment_align: 8
    .kernarg_segment_size: 104
    .language:       OpenCL C
    .language_version:
      - 2
      - 0
    .max_flat_workgroup_size: 126
    .name:           bluestein_single_fwd_len1134_dim1_sp_op_CI_CI
    .private_segment_fixed_size: 0
    .sgpr_count:     24
    .sgpr_spill_count: 0
    .symbol:         bluestein_single_fwd_len1134_dim1_sp_op_CI_CI.kd
    .uniform_work_group_size: 1
    .uses_dynamic_stack: false
    .vgpr_count:     156
    .vgpr_spill_count: 0
    .wavefront_size: 64
amdhsa.target:   amdgcn-amd-amdhsa--gfx906
amdhsa.version:
  - 1
  - 2
...

	.end_amdgpu_metadata
